;; amdgpu-corpus repo=ROCm/rocFFT kind=compiled arch=gfx906 opt=O3
	.text
	.amdgcn_target "amdgcn-amd-amdhsa--gfx906"
	.amdhsa_code_object_version 6
	.protected	bluestein_single_back_len1326_dim1_dp_op_CI_CI ; -- Begin function bluestein_single_back_len1326_dim1_dp_op_CI_CI
	.globl	bluestein_single_back_len1326_dim1_dp_op_CI_CI
	.p2align	8
	.type	bluestein_single_back_len1326_dim1_dp_op_CI_CI,@function
bluestein_single_back_len1326_dim1_dp_op_CI_CI: ; @bluestein_single_back_len1326_dim1_dp_op_CI_CI
; %bb.0:
	s_mov_b64 s[66:67], s[2:3]
	v_mul_u32_u24_e32 v1, 0x283, v0
	s_mov_b64 s[64:65], s[0:1]
	v_lshrrev_b32_e32 v1, 16, v1
	s_add_u32 s64, s64, s7
	v_lshl_add_u32 v3, s6, 1, v1
	s_addc_u32 s65, s65, 0
	v_mov_b32_e32 v2, v3
	buffer_store_dword v2, off, s[64:67], 0 offset:4 ; 4-byte Folded Spill
	s_nop 0
	buffer_store_dword v3, off, s[64:67], 0 offset:8 ; 4-byte Folded Spill
	s_load_dwordx4 s[0:3], s[4:5], 0x28
	v_mov_b32_e32 v4, 0
	s_waitcnt lgkmcnt(0)
	v_cmp_gt_u64_e32 vcc, s[0:1], v[3:4]
	s_and_saveexec_b64 s[0:1], vcc
	s_cbranch_execz .LBB0_23
; %bb.1:
	s_load_dwordx2 s[12:13], s[4:5], 0x0
	s_load_dwordx2 s[14:15], s[4:5], 0x38
	v_mul_lo_u16_e32 v2, 0x66, v1
	v_sub_u16_e32 v2, v0, v2
	v_and_b32_e32 v0, 1, v1
	v_mov_b32_e32 v1, 0x52e
	v_cmp_eq_u32_e32 vcc, 1, v0
	v_cndmask_b32_e32 v255, 0, v1, vcc
	s_movk_i32 s0, 0x4e
	v_cmp_gt_u16_e64 s[0:1], s0, v2
	v_lshlrev_b32_e32 v0, 4, v255
	buffer_store_dword v2, off, s[64:67], 0 ; 4-byte Folded Spill
	buffer_store_dword v0, off, s[64:67], 0 offset:12 ; 4-byte Folded Spill
	s_and_saveexec_b64 s[6:7], s[0:1]
	s_cbranch_execz .LBB0_3
; %bb.2:
	s_load_dwordx2 s[8:9], s[4:5], 0x18
	s_waitcnt lgkmcnt(0)
	v_mov_b32_e32 v20, s13
	s_load_dwordx4 s[8:11], s[8:9], 0x0
	buffer_load_dword v0, off, s[64:67], 0 offset:4 ; 4-byte Folded Reload
	buffer_load_dword v1, off, s[64:67], 0 offset:8 ; 4-byte Folded Reload
	buffer_load_dword v141, off, s[64:67], 0 ; 4-byte Folded Reload
	s_waitcnt vmcnt(2)
	v_mov_b32_e32 v4, v0
	s_waitcnt vmcnt(1) lgkmcnt(0)
	v_mad_u64_u32 v[0:1], s[16:17], s10, v4, 0
	s_waitcnt vmcnt(0)
	v_mad_u64_u32 v[2:3], s[16:17], s8, v141, 0
	v_lshlrev_b32_e32 v140, 4, v141
	v_mad_u64_u32 v[4:5], s[10:11], s11, v4, v[1:2]
	v_mad_u64_u32 v[5:6], s[10:11], s9, v141, v[3:4]
	v_mov_b32_e32 v1, v4
	v_lshlrev_b64 v[0:1], 4, v[0:1]
	v_mov_b32_e32 v3, v5
	v_mov_b32_e32 v6, s3
	v_lshlrev_b64 v[2:3], 4, v[2:3]
	v_add_co_u32_e32 v0, vcc, s2, v0
	v_addc_co_u32_e32 v1, vcc, v6, v1, vcc
	v_add_co_u32_e32 v40, vcc, v0, v2
	v_addc_co_u32_e32 v41, vcc, v1, v3, vcc
	global_load_dwordx4 v[0:3], v140, s[12:13]
	global_load_dwordx4 v[4:7], v[40:41], off
	v_add_co_u32_e32 v118, vcc, s12, v140
	s_movk_i32 s2, 0x1000
	s_movk_i32 s3, 0x2000
	v_addc_co_u32_e32 v119, vcc, 0, v20, vcc
	v_add_co_u32_e32 v42, vcc, s2, v118
	v_add_co_u32_e64 v80, s[2:3], s3, v118
	v_addc_co_u32_e32 v43, vcc, 0, v119, vcc
	v_addc_co_u32_e64 v81, vcc, 0, v119, s[2:3]
	s_mul_i32 s3, s9, 0x4e0
	s_mul_hi_u32 s9, s8, 0x4e0
	s_mul_i32 s2, s8, 0x4e0
	s_add_i32 s3, s9, s3
	global_load_dwordx4 v[8:11], v140, s[12:13] offset:1248
	global_load_dwordx4 v[12:15], v140, s[12:13] offset:2496
	;; [unrolled: 1-line block ×3, first 2 shown]
	global_load_dwordx4 v[20:23], v[42:43], off offset:896
	global_load_dwordx4 v[24:27], v[42:43], off offset:2144
	;; [unrolled: 1-line block ×5, first 2 shown]
	v_mov_b32_e32 v42, s3
	v_add_co_u32_e32 v43, vcc, s2, v40
	v_addc_co_u32_e32 v44, vcc, v41, v42, vcc
	v_mov_b32_e32 v46, s3
	v_add_co_u32_e32 v45, vcc, s2, v43
	v_addc_co_u32_e32 v46, vcc, v44, v46, vcc
	;; [unrolled: 3-line block ×4, first 2 shown]
	v_mov_b32_e32 v57, s3
	v_add_co_u32_e32 v59, vcc, s2, v55
	global_load_dwordx4 v[40:43], v[43:44], off
	v_addc_co_u32_e32 v60, vcc, v56, v57, vcc
	global_load_dwordx4 v[48:51], v[51:52], off
	v_mov_b32_e32 v61, s3
	global_load_dwordx4 v[44:47], v[45:46], off
	v_add_co_u32_e32 v63, vcc, s2, v59
	global_load_dwordx4 v[52:55], v[55:56], off
	v_addc_co_u32_e32 v64, vcc, v60, v61, vcc
	v_mov_b32_e32 v65, s3
	v_add_co_u32_e32 v67, vcc, s2, v63
	v_addc_co_u32_e32 v68, vcc, v64, v65, vcc
	v_mov_b32_e32 v69, s3
	v_add_co_u32_e32 v71, vcc, s2, v67
	;; [unrolled: 3-line block ×3, first 2 shown]
	global_load_dwordx4 v[56:59], v[59:60], off
	v_addc_co_u32_e32 v83, vcc, v72, v73, vcc
	global_load_dwordx4 v[60:63], v[63:64], off
	v_add_co_u32_e32 v84, vcc, s2, v82
	global_load_dwordx4 v[64:67], v[67:68], off
	s_movk_i32 s8, 0x3000
	global_load_dwordx4 v[68:71], v[71:72], off
	s_nop 0
	global_load_dwordx4 v[72:75], v[82:83], off
	global_load_dwordx4 v[76:79], v[80:81], off offset:3040
	v_mov_b32_e32 v80, s3
	v_addc_co_u32_e32 v85, vcc, v83, v80, vcc
	v_add_co_u32_e32 v112, vcc, s8, v118
	v_addc_co_u32_e32 v113, vcc, 0, v119, vcc
	v_mov_b32_e32 v86, s3
	v_add_co_u32_e32 v96, vcc, s2, v84
	v_addc_co_u32_e32 v97, vcc, v85, v86, vcc
	v_mov_b32_e32 v98, s3
	;; [unrolled: 3-line block ×3, first 2 shown]
	v_add_co_u32_e32 v114, vcc, s2, v100
	v_addc_co_u32_e32 v115, vcc, v101, v102, vcc
	global_load_dwordx4 v[80:83], v[84:85], off
	s_nop 0
	global_load_dwordx4 v[84:87], v[96:97], off
	global_load_dwordx4 v[88:91], v[112:113], off offset:192
	global_load_dwordx4 v[92:95], v[112:113], off offset:1440
	v_add_co_u32_e32 v116, vcc, s2, v114
	global_load_dwordx4 v[96:99], v[100:101], off
	s_nop 0
	global_load_dwordx4 v[100:103], v[114:115], off
	global_load_dwordx4 v[104:107], v[112:113], off offset:2688
	global_load_dwordx4 v[108:111], v[112:113], off offset:3936
	v_mov_b32_e32 v112, s3
	v_addc_co_u32_e32 v117, vcc, v115, v112, vcc
	s_movk_i32 s8, 0x4000
	v_add_co_u32_e32 v132, vcc, s8, v118
	v_addc_co_u32_e32 v133, vcc, 0, v119, vcc
	v_mov_b32_e32 v118, s3
	v_add_co_u32_e32 v128, vcc, s2, v116
	v_addc_co_u32_e32 v129, vcc, v117, v118, vcc
	global_load_dwordx4 v[112:115], v[116:117], off
	s_nop 0
	global_load_dwordx4 v[116:119], v[128:129], off
	global_load_dwordx4 v[120:123], v[132:133], off offset:1088
	global_load_dwordx4 v[124:127], v[132:133], off offset:2336
	v_mov_b32_e32 v130, s3
	v_add_co_u32_e32 v128, vcc, s2, v128
	v_addc_co_u32_e32 v129, vcc, v129, v130, vcc
	global_load_dwordx4 v[128:131], v[128:129], off
	s_nop 0
	global_load_dwordx4 v[132:135], v[132:133], off offset:3584
	s_waitcnt vmcnt(32)
	v_mul_f64 v[136:137], v[6:7], v[2:3]
	v_mul_f64 v[138:139], v[4:5], v[2:3]
	v_fma_f64 v[2:3], v[4:5], v[0:1], v[136:137]
	v_fma_f64 v[4:5], v[6:7], v[0:1], -v[138:139]
	v_lshlrev_b32_e32 v136, 4, v255
	v_lshl_add_u32 v6, v141, 4, v136
	s_waitcnt vmcnt(23)
	v_mul_f64 v[0:1], v[42:43], v[10:11]
	ds_write_b128 v6, v[2:5]
	v_mul_f64 v[2:3], v[40:41], v[10:11]
	s_waitcnt vmcnt(21)
	v_mul_f64 v[4:5], v[46:47], v[14:15]
	v_mul_f64 v[6:7], v[44:45], v[14:15]
	v_mul_f64 v[10:11], v[50:51], v[18:19]
	v_mul_f64 v[14:15], v[48:49], v[18:19]
	s_waitcnt vmcnt(20)
	v_mul_f64 v[18:19], v[54:55], v[22:23]
	v_mul_f64 v[22:23], v[52:53], v[22:23]
	v_fma_f64 v[0:1], v[40:41], v[8:9], v[0:1]
	v_fma_f64 v[2:3], v[42:43], v[8:9], -v[2:3]
	v_fma_f64 v[4:5], v[44:45], v[12:13], v[4:5]
	v_fma_f64 v[6:7], v[46:47], v[12:13], -v[6:7]
	;; [unrolled: 2-line block ×3, first 2 shown]
	v_fma_f64 v[12:13], v[52:53], v[20:21], v[18:19]
	s_waitcnt vmcnt(19)
	v_mul_f64 v[16:17], v[58:59], v[26:27]
	v_mul_f64 v[18:19], v[56:57], v[26:27]
	v_fma_f64 v[14:15], v[54:55], v[20:21], -v[22:23]
	s_waitcnt vmcnt(18)
	v_mul_f64 v[20:21], v[62:63], v[30:31]
	v_mul_f64 v[22:23], v[60:61], v[30:31]
	s_waitcnt vmcnt(17)
	v_mul_f64 v[26:27], v[66:67], v[34:35]
	v_mul_f64 v[30:31], v[64:65], v[34:35]
	;; [unrolled: 3-line block ×3, first 2 shown]
	v_fma_f64 v[16:17], v[56:57], v[24:25], v[16:17]
	v_fma_f64 v[18:19], v[58:59], v[24:25], -v[18:19]
	v_fma_f64 v[20:21], v[60:61], v[28:29], v[20:21]
	v_fma_f64 v[22:23], v[62:63], v[28:29], -v[22:23]
	v_fma_f64 v[24:25], v[64:65], v[32:33], v[26:27]
	v_fma_f64 v[26:27], v[66:67], v[32:33], -v[30:31]
	v_add_u32_e32 v40, v136, v140
	v_fma_f64 v[28:29], v[68:69], v[36:37], v[34:35]
	v_fma_f64 v[30:31], v[70:71], v[36:37], -v[38:39]
	ds_write_b128 v40, v[0:3] offset:1248
	ds_write_b128 v40, v[4:7] offset:2496
	;; [unrolled: 1-line block ×8, first 2 shown]
	s_waitcnt vmcnt(14)
	v_mul_f64 v[0:1], v[74:75], v[78:79]
	v_mul_f64 v[2:3], v[72:73], v[78:79]
	s_waitcnt vmcnt(11)
	v_mul_f64 v[4:5], v[82:83], v[90:91]
	v_mul_f64 v[6:7], v[80:81], v[90:91]
	;; [unrolled: 3-line block ×5, first 2 shown]
	v_fma_f64 v[0:1], v[72:73], v[76:77], v[0:1]
	v_fma_f64 v[2:3], v[74:75], v[76:77], -v[2:3]
	v_fma_f64 v[4:5], v[80:81], v[88:89], v[4:5]
	v_fma_f64 v[6:7], v[82:83], v[88:89], -v[6:7]
	;; [unrolled: 2-line block ×5, first 2 shown]
	s_waitcnt vmcnt(3)
	v_mul_f64 v[20:21], v[114:115], v[122:123]
	v_mul_f64 v[22:23], v[112:113], v[122:123]
	s_waitcnt vmcnt(2)
	v_mul_f64 v[24:25], v[118:119], v[126:127]
	v_mul_f64 v[26:27], v[116:117], v[126:127]
	;; [unrolled: 3-line block ×3, first 2 shown]
	v_fma_f64 v[20:21], v[112:113], v[120:121], v[20:21]
	v_fma_f64 v[22:23], v[114:115], v[120:121], -v[22:23]
	v_fma_f64 v[24:25], v[116:117], v[124:125], v[24:25]
	v_fma_f64 v[26:27], v[118:119], v[124:125], -v[26:27]
	;; [unrolled: 2-line block ×3, first 2 shown]
	ds_write_b128 v40, v[0:3] offset:11232
	ds_write_b128 v40, v[4:7] offset:12480
	;; [unrolled: 1-line block ×8, first 2 shown]
.LBB0_3:
	s_or_b64 exec, exec, s[6:7]
	s_waitcnt vmcnt(0) lgkmcnt(0)
	s_barrier
	s_waitcnt lgkmcnt(0)
                                        ; implicit-def: $vgpr0_vgpr1
                                        ; implicit-def: $vgpr76_vgpr77
                                        ; implicit-def: $vgpr80_vgpr81
                                        ; implicit-def: $vgpr64_vgpr65
                                        ; implicit-def: $vgpr56_vgpr57
                                        ; implicit-def: $vgpr52_vgpr53
                                        ; implicit-def: $vgpr48_vgpr49
                                        ; implicit-def: $vgpr4_vgpr5
                                        ; implicit-def: $vgpr8_vgpr9
                                        ; implicit-def: $vgpr12_vgpr13
                                        ; implicit-def: $vgpr16_vgpr17
                                        ; implicit-def: $vgpr20_vgpr21
                                        ; implicit-def: $vgpr24_vgpr25
                                        ; implicit-def: $vgpr28_vgpr29
                                        ; implicit-def: $vgpr36_vgpr37
                                        ; implicit-def: $vgpr40_vgpr41
                                        ; implicit-def: $vgpr44_vgpr45
	s_and_saveexec_b64 s[2:3], s[0:1]
	s_cbranch_execz .LBB0_5
; %bb.4:
	buffer_load_dword v0, off, s[64:67], 0  ; 4-byte Folded Reload
	s_waitcnt vmcnt(0)
	v_lshlrev_b32_e32 v0, 4, v0
	v_lshl_add_u32 v32, v255, 4, v0
	ds_read_b128 v[0:3], v32
	ds_read_b128 v[76:79], v32 offset:1248
	ds_read_b128 v[80:83], v32 offset:2496
	;; [unrolled: 1-line block ×16, first 2 shown]
.LBB0_5:
	s_or_b64 exec, exec, s[2:3]
	s_waitcnt lgkmcnt(0)
	v_add_f64 v[215:216], v[78:79], -v[46:47]
	v_add_f64 v[196:197], v[76:77], -v[44:45]
	s_mov_b32 s30, 0x2a9d6da3
	s_mov_b32 s34, 0x7c9e640b
	;; [unrolled: 1-line block ×4, first 2 shown]
	v_add_f64 v[102:103], v[76:77], v[44:45]
	v_add_f64 v[104:105], v[78:79], v[46:47]
	v_mul_f64 v[198:199], v[215:216], s[34:35]
	v_mul_f64 v[184:185], v[196:197], s[30:31]
	;; [unrolled: 1-line block ×3, first 2 shown]
	v_add_f64 v[233:234], v[82:83], -v[42:43]
	v_add_f64 v[225:226], v[80:81], -v[40:41]
	s_mov_b32 s18, 0x75d4884
	s_mov_b32 s10, 0x2b2883cd
	;; [unrolled: 1-line block ×8, first 2 shown]
	v_fma_f64 v[62:63], v[104:105], s[18:19], -v[184:185]
	v_fma_f64 v[68:69], v[102:103], s[10:11], v[198:199]
	v_fma_f64 v[70:71], v[104:105], s[10:11], -v[200:201]
	v_add_f64 v[122:123], v[80:81], v[40:41]
	v_add_f64 v[126:127], v[82:83], v[42:43]
	v_mul_f64 v[202:203], v[225:226], s[38:39]
	v_mul_f64 v[219:220], v[233:234], s[36:37]
	;; [unrolled: 1-line block ×3, first 2 shown]
	s_mov_b32 s16, 0x3259b75e
	s_mov_b32 s22, 0x6ed5f1bb
	;; [unrolled: 1-line block ×4, first 2 shown]
	v_add_f64 v[62:63], v[2:3], v[62:63]
	v_add_f64 v[68:69], v[0:1], v[68:69]
	;; [unrolled: 1-line block ×3, first 2 shown]
	v_fma_f64 v[86:87], v[126:127], s[16:17], -v[202:203]
	v_fma_f64 v[88:89], v[122:123], s[22:23], v[219:220]
	v_fma_f64 v[90:91], v[126:127], s[22:23], -v[229:230]
	v_add_f64 v[237:238], v[66:67], -v[38:39]
	v_add_f64 v[235:236], v[64:65], -v[36:37]
	s_mov_b32 s40, 0xacd6c6b4
	s_mov_b32 s41, 0xbfc7851a
	;; [unrolled: 1-line block ×4, first 2 shown]
	v_add_f64 v[62:63], v[86:87], v[62:63]
	v_add_f64 v[68:69], v[88:89], v[68:69]
	;; [unrolled: 1-line block ×3, first 2 shown]
	v_mul_f64 v[86:87], v[235:236], s[36:37]
	v_mul_f64 v[88:89], v[237:238], s[46:47]
	;; [unrolled: 1-line block ×3, first 2 shown]
	buffer_store_dword v86, off, s[64:67], 0 offset:16 ; 4-byte Folded Spill
	s_nop 0
	buffer_store_dword v87, off, s[64:67], 0 offset:20 ; 4-byte Folded Spill
	buffer_store_dword v88, off, s[64:67], 0 offset:32 ; 4-byte Folded Spill
	s_nop 0
	buffer_store_dword v89, off, s[64:67], 0 offset:36 ; 4-byte Folded Spill
	;; [unrolled: 3-line block ×3, first 2 shown]
	s_mov_b32 s28, 0x5d8e7cdc
	s_mov_b32 s29, 0xbfd71e95
	v_mul_f64 v[92:93], v[215:216], s[28:29]
	s_mov_b32 s2, 0x370991
	s_mov_b32 s3, 0x3fedd6d0
	v_mul_f64 v[182:183], v[215:216], s[30:31]
	v_mul_f64 v[186:187], v[233:234], s[30:31]
	;; [unrolled: 1-line block ×3, first 2 shown]
	v_add_f64 v[142:143], v[64:65], v[36:37]
	v_mul_f64 v[204:205], v[237:238], s[34:35]
	v_fma_f64 v[32:33], v[102:103], s[2:3], v[92:93]
	v_add_f64 v[144:145], v[66:67], v[38:39]
	v_mul_f64 v[212:213], v[237:238], s[36:37]
	v_fma_f64 v[60:61], v[102:103], s[18:19], v[182:183]
	v_fma_f64 v[72:73], v[122:123], s[18:19], v[186:187]
	;; [unrolled: 1-line block ×3, first 2 shown]
	s_mov_b32 s26, 0x7faef3
	s_mov_b32 s27, 0xbfef7484
	v_add_f64 v[32:33], v[0:1], v[32:33]
	v_add_f64 v[106:107], v[58:59], -v[30:31]
	v_add_f64 v[239:240], v[56:57], -v[28:29]
	v_add_f64 v[60:61], v[0:1], v[60:61]
	s_mov_b32 s42, 0x923c349f
	s_mov_b32 s43, 0xbfeec746
	;; [unrolled: 1-line block ×4, first 2 shown]
	v_add_f64 v[32:33], v[72:73], v[32:33]
	v_fma_f64 v[72:73], v[142:143], s[10:11], v[204:205]
	v_add_f64 v[124:125], v[54:55], -v[26:27]
	v_add_f64 v[60:61], v[84:85], v[60:61]
	v_fma_f64 v[84:85], v[142:143], s[22:23], v[212:213]
	v_mul_f64 v[94:95], v[196:197], s[28:29]
	v_mul_f64 v[188:189], v[225:226], s[30:31]
	v_mul_f64 v[208:209], v[235:236], s[34:35]
	v_add_f64 v[156:157], v[56:57], v[28:29]
	v_add_f64 v[32:33], v[72:73], v[32:33]
	v_mul_f64 v[227:228], v[106:107], s[38:39]
	v_add_f64 v[160:161], v[58:59], v[30:31]
	v_add_f64 v[60:61], v[84:85], v[60:61]
	v_mul_f64 v[84:85], v[239:240], s[40:41]
	buffer_store_dword v84, off, s[64:67], 0 offset:88 ; 4-byte Folded Spill
	s_nop 0
	buffer_store_dword v85, off, s[64:67], 0 offset:92 ; 4-byte Folded Spill
	v_fma_f64 v[34:35], v[104:105], s[2:3], -v[94:95]
	v_fma_f64 v[74:75], v[126:127], s[18:19], -v[188:189]
	v_mul_f64 v[231:232], v[239:240], s[38:39]
	v_add_f64 v[100:101], v[52:53], -v[24:25]
	s_mov_b32 s20, 0xc61f0d01
	s_mov_b32 s48, 0x4363dd80
	;; [unrolled: 1-line block ×4, first 2 shown]
	v_add_f64 v[34:35], v[2:3], v[34:35]
	v_add_f64 v[172:173], v[52:53], v[24:25]
	v_mul_f64 v[98:99], v[124:125], s[48:49]
	v_mul_f64 v[96:97], v[100:101], s[42:43]
	s_mov_b32 s51, 0x3fe58eea
	s_mov_b32 s50, s30
	v_mul_f64 v[241:242], v[106:107], s[40:41]
	v_add_f64 v[174:175], v[54:55], v[26:27]
	v_add_f64 v[34:35], v[74:75], v[34:35]
	v_fma_f64 v[74:75], v[144:145], s[10:11], -v[208:209]
	s_mov_b32 s24, 0x910ea3b9
	s_mov_b32 s25, 0xbfeb34fa
	v_add_f64 v[158:159], v[50:51], -v[22:23]
	v_add_f64 v[120:121], v[48:49], -v[20:21]
	v_add_f64 v[192:193], v[48:49], v[20:21]
	v_add_f64 v[176:177], v[6:7], -v[18:19]
	s_mov_b32 s55, 0xbfe0d888
	v_add_f64 v[34:35], v[74:75], v[34:35]
	v_fma_f64 v[74:75], v[156:157], s[26:27], v[241:242]
	s_mov_b32 s54, s48
	v_fma_f64 v[72:73], v[144:145], s[22:23], -v[86:87]
	v_fma_f64 v[86:87], v[142:143], s[26:27], v[88:89]
	v_fma_f64 v[88:89], v[144:145], s[26:27], -v[90:91]
	v_mul_f64 v[90:91], v[124:125], s[42:43]
	v_mul_f64 v[108:109], v[120:121], s[28:29]
	v_add_f64 v[194:195], v[50:51], v[22:23]
	v_add_f64 v[60:61], v[74:75], v[60:61]
	v_add_f64 v[152:153], v[4:5], -v[16:17]
	v_add_f64 v[62:63], v[72:73], v[62:63]
	v_add_f64 v[68:69], v[86:87], v[68:69]
	;; [unrolled: 1-line block ×3, first 2 shown]
	v_mul_f64 v[86:87], v[106:107], s[44:45]
	v_mul_f64 v[88:89], v[239:240], s[44:45]
	buffer_store_dword v86, off, s[64:67], 0 offset:152 ; 4-byte Folded Spill
	s_nop 0
	buffer_store_dword v87, off, s[64:67], 0 offset:156 ; 4-byte Folded Spill
	buffer_store_dword v88, off, s[64:67], 0 offset:200 ; 4-byte Folded Spill
	s_nop 0
	buffer_store_dword v89, off, s[64:67], 0 offset:204 ; 4-byte Folded Spill
	;; [unrolled: 3-line block ×3, first 2 shown]
	v_fma_f64 v[72:73], v[156:157], s[16:17], v[227:228]
	buffer_store_dword v96, off, s[64:67], 0 offset:56 ; 4-byte Folded Spill
	s_nop 0
	buffer_store_dword v97, off, s[64:67], 0 offset:60 ; 4-byte Folded Spill
	buffer_store_dword v98, off, s[64:67], 0 offset:72 ; 4-byte Folded Spill
	s_nop 0
	buffer_store_dword v99, off, s[64:67], 0 offset:76 ; 4-byte Folded Spill
	v_add_f64 v[206:207], v[4:5], v[16:17]
	s_mov_b32 s57, 0x3feca52d
	s_mov_b32 s56, s34
	v_add_f64 v[210:211], v[6:7], v[18:19]
	v_add_f64 v[180:181], v[10:11], -v[14:15]
	v_add_f64 v[32:33], v[72:73], v[32:33]
	v_fma_f64 v[72:73], v[160:161], s[16:17], -v[231:232]
	v_add_f64 v[178:179], v[8:9], -v[12:13]
	s_mov_b32 s53, 0x3fd71e95
	s_mov_b32 s52, s28
	v_add_f64 v[221:222], v[8:9], v[12:13]
	v_add_f64 v[223:224], v[10:11], v[14:15]
	v_mul_f64 v[217:218], v[215:216], s[38:39]
	v_mul_f64 v[243:244], v[196:197], s[38:39]
	v_add_f64 v[34:35], v[72:73], v[34:35]
	v_mul_f64 v[249:250], v[237:238], s[44:45]
	v_mul_f64 v[110:111], v[235:236], s[44:45]
	;; [unrolled: 1-line block ×6, first 2 shown]
	s_mov_b32 s61, 0x3fe9895b
	s_mov_b32 s60, s36
	v_mul_f64 v[251:252], v[176:177], s[60:61]
	v_mul_f64 v[116:117], v[152:153], s[60:61]
	v_fma_f64 v[84:85], v[160:161], s[26:27], -v[84:85]
	v_mul_f64 v[247:248], v[180:181], s[50:51]
	v_mul_f64 v[118:119], v[178:179], s[50:51]
	;; [unrolled: 1-line block ×7, first 2 shown]
	v_add_f64 v[62:63], v[84:85], v[62:63]
	v_mul_f64 v[162:163], v[235:236], s[50:51]
	v_mul_f64 v[132:133], v[106:107], s[34:35]
	;; [unrolled: 1-line block ×5, first 2 shown]
	s_mov_b32 s59, 0x3fefdd0d
	s_mov_b32 s58, s38
	v_mul_f64 v[138:139], v[158:159], s[58:59]
	v_mul_f64 v[166:167], v[120:121], s[58:59]
	;; [unrolled: 1-line block ×6, first 2 shown]
	v_fma_f64 v[86:87], v[156:157], s[20:21], v[86:87]
	v_fma_f64 v[88:89], v[160:161], s[20:21], -v[88:89]
	v_fma_f64 v[72:73], v[172:173], s[20:21], v[90:91]
	v_mul_f64 v[90:91], v[100:101], s[50:51]
	v_fma_f64 v[74:75], v[174:175], s[20:21], -v[96:97]
	v_fma_f64 v[84:85], v[172:173], s[24:25], v[98:99]
	v_mul_f64 v[96:97], v[120:121], s[44:45]
	v_mul_f64 v[98:99], v[158:159], s[28:29]
	v_add_f64 v[68:69], v[86:87], v[68:69]
	v_add_f64 v[70:71], v[88:89], v[70:71]
	v_mul_f64 v[86:87], v[100:101], s[48:49]
	v_mul_f64 v[88:89], v[124:125], s[50:51]
	buffer_store_dword v86, off, s[64:67], 0 offset:168 ; 4-byte Folded Spill
	s_nop 0
	buffer_store_dword v87, off, s[64:67], 0 offset:172 ; 4-byte Folded Spill
	buffer_store_dword v88, off, s[64:67], 0 offset:184 ; 4-byte Folded Spill
	s_nop 0
	buffer_store_dword v89, off, s[64:67], 0 offset:188 ; 4-byte Folded Spill
	;; [unrolled: 3-line block ×3, first 2 shown]
	v_add_f64 v[32:33], v[72:73], v[32:33]
	v_add_f64 v[34:35], v[74:75], v[34:35]
	;; [unrolled: 1-line block ×3, first 2 shown]
	v_fma_f64 v[72:73], v[174:175], s[24:25], -v[86:87]
	v_fma_f64 v[74:75], v[172:173], s[18:19], v[88:89]
	v_fma_f64 v[84:85], v[174:175], s[18:19], -v[90:91]
	v_mul_f64 v[86:87], v[158:159], s[36:37]
	v_mul_f64 v[88:89], v[120:121], s[36:37]
	;; [unrolled: 1-line block ×3, first 2 shown]
	buffer_store_dword v86, off, s[64:67], 0 offset:120 ; 4-byte Folded Spill
	s_nop 0
	buffer_store_dword v87, off, s[64:67], 0 offset:124 ; 4-byte Folded Spill
	buffer_store_dword v88, off, s[64:67], 0 offset:136 ; 4-byte Folded Spill
	s_nop 0
	buffer_store_dword v89, off, s[64:67], 0 offset:140 ; 4-byte Folded Spill
	;; [unrolled: 3-line block ×3, first 2 shown]
	v_add_f64 v[70:71], v[84:85], v[70:71]
	buffer_store_dword v96, off, s[64:67], 0 offset:256 ; 4-byte Folded Spill
	s_nop 0
	buffer_store_dword v97, off, s[64:67], 0 offset:260 ; 4-byte Folded Spill
	buffer_store_dword v98, off, s[64:67], 0 offset:264 ; 4-byte Folded Spill
	s_nop 0
	buffer_store_dword v99, off, s[64:67], 0 offset:268 ; 4-byte Folded Spill
	;; [unrolled: 3-line block ×3, first 2 shown]
	v_add_f64 v[62:63], v[72:73], v[62:63]
	v_add_f64 v[68:69], v[74:75], v[68:69]
	v_fma_f64 v[72:73], v[192:193], s[22:23], v[86:87]
	v_fma_f64 v[74:75], v[194:195], s[22:23], -v[88:89]
	v_fma_f64 v[84:85], v[192:193], s[20:21], v[90:91]
	v_mul_f64 v[90:91], v[176:177], s[54:55]
	buffer_store_dword v90, off, s[64:67], 0 offset:216 ; 4-byte Folded Spill
	s_nop 0
	buffer_store_dword v91, off, s[64:67], 0 offset:220 ; 4-byte Folded Spill
	v_fma_f64 v[86:87], v[194:195], s[20:21], -v[96:97]
	v_fma_f64 v[88:89], v[192:193], s[2:3], v[98:99]
	v_mul_f64 v[96:97], v[152:153], s[54:55]
	v_add_f64 v[34:35], v[74:75], v[34:35]
	buffer_store_dword v96, off, s[64:67], 0 offset:232 ; 4-byte Folded Spill
	s_nop 0
	buffer_store_dword v97, off, s[64:67], 0 offset:236 ; 4-byte Folded Spill
	v_add_f64 v[62:63], v[86:87], v[62:63]
	v_add_f64 v[68:69], v[88:89], v[68:69]
	v_mul_f64 v[86:87], v[176:177], s[56:57]
	v_mul_f64 v[88:89], v[176:177], s[38:39]
	buffer_store_dword v86, off, s[64:67], 0 offset:248 ; 4-byte Folded Spill
	s_nop 0
	buffer_store_dword v87, off, s[64:67], 0 offset:252 ; 4-byte Folded Spill
	v_add_f64 v[32:33], v[72:73], v[32:33]
	v_add_f64 v[60:61], v[84:85], v[60:61]
	v_fma_f64 v[72:73], v[194:195], s[2:3], -v[108:109]
	v_mul_f64 v[98:99], v[152:153], s[38:39]
	v_mul_f64 v[108:109], v[239:240], s[52:53]
	v_add_f64 v[70:71], v[72:73], v[70:71]
	v_fma_f64 v[74:75], v[206:207], s[24:25], v[90:91]
	v_mul_f64 v[90:91], v[152:153], s[56:57]
	buffer_store_dword v90, off, s[64:67], 0 offset:312 ; 4-byte Folded Spill
	s_nop 0
	buffer_store_dword v91, off, s[64:67], 0 offset:316 ; 4-byte Folded Spill
	buffer_store_dword v88, off, s[64:67], 0 offset:296 ; 4-byte Folded Spill
	s_nop 0
	buffer_store_dword v89, off, s[64:67], 0 offset:300 ; 4-byte Folded Spill
	v_fma_f64 v[84:85], v[210:211], s[24:25], -v[96:97]
	v_add_f64 v[32:33], v[74:75], v[32:33]
	v_mul_f64 v[96:97], v[178:179], s[52:53]
	buffer_store_dword v98, off, s[64:67], 0 offset:352 ; 4-byte Folded Spill
	s_nop 0
	buffer_store_dword v99, off, s[64:67], 0 offset:356 ; 4-byte Folded Spill
	v_add_f64 v[34:35], v[84:85], v[34:35]
	v_fma_f64 v[72:73], v[206:207], s[10:11], v[86:87]
	v_mul_f64 v[86:87], v[180:181], s[40:41]
	buffer_store_dword v86, off, s[64:67], 0 offset:280 ; 4-byte Folded Spill
	s_nop 0
	buffer_store_dword v87, off, s[64:67], 0 offset:284 ; 4-byte Folded Spill
	v_add_f64 v[60:61], v[72:73], v[60:61]
	v_fma_f64 v[74:75], v[210:211], s[10:11], -v[90:91]
	v_fma_f64 v[84:85], v[206:207], s[16:17], v[88:89]
	v_mul_f64 v[88:89], v[178:179], s[40:41]
	v_mul_f64 v[90:91], v[180:181], s[52:53]
	buffer_store_dword v88, off, s[64:67], 0 offset:288 ; 4-byte Folded Spill
	s_nop 0
	buffer_store_dword v89, off, s[64:67], 0 offset:292 ; 4-byte Folded Spill
	buffer_store_dword v90, off, s[64:67], 0 offset:304 ; 4-byte Folded Spill
	s_nop 0
	buffer_store_dword v91, off, s[64:67], 0 offset:308 ; 4-byte Folded Spill
	;; [unrolled: 3-line block ×3, first 2 shown]
	v_add_f64 v[62:63], v[74:75], v[62:63]
	v_fma_f64 v[72:73], v[210:211], s[16:17], -v[98:99]
	v_add_f64 v[68:69], v[84:85], v[68:69]
	v_mul_f64 v[98:99], v[178:179], s[54:55]
	v_fma_f64 v[74:75], v[221:222], s[26:27], v[86:87]
	v_add_f64 v[70:71], v[72:73], v[70:71]
	v_add_f64 v[72:73], v[74:75], v[32:33]
	v_fma_f64 v[84:85], v[223:224], s[26:27], -v[88:89]
	v_fma_f64 v[86:87], v[221:222], s[2:3], v[90:91]
	v_fma_f64 v[88:89], v[223:224], s[2:3], -v[96:97]
	v_mul_f64 v[96:97], v[180:181], s[54:55]
	buffer_store_dword v96, off, s[64:67], 0 offset:336 ; 4-byte Folded Spill
	s_nop 0
	buffer_store_dword v97, off, s[64:67], 0 offset:340 ; 4-byte Folded Spill
	v_add_f64 v[60:61], v[86:87], v[60:61]
	buffer_store_dword v98, off, s[64:67], 0 offset:344 ; 4-byte Folded Spill
	s_nop 0
	buffer_store_dword v99, off, s[64:67], 0 offset:348 ; 4-byte Folded Spill
	v_mul_f64 v[86:87], v[233:234], s[40:41]
	buffer_store_dword v86, off, s[64:67], 0 offset:360 ; 4-byte Folded Spill
	s_nop 0
	buffer_store_dword v87, off, s[64:67], 0 offset:364 ; 4-byte Folded Spill
	v_fma_f64 v[90:91], v[102:103], s[16:17], v[217:218]
	v_add_f64 v[74:75], v[84:85], v[34:35]
	v_add_f64 v[62:63], v[88:89], v[62:63]
	v_fma_f64 v[88:89], v[126:127], s[24:25], -v[150:151]
	s_load_dwordx2 s[6:7], s[4:5], 0x20
	s_load_dwordx2 s[8:9], s[4:5], 0x8
	s_waitcnt vmcnt(0) lgkmcnt(0)
	s_barrier
	v_add_f64 v[84:85], v[0:1], v[90:91]
	v_fma_f64 v[32:33], v[221:222], s[24:25], v[96:97]
	v_mul_f64 v[96:97], v[158:159], s[54:55]
	v_fma_f64 v[34:35], v[223:224], s[24:25], -v[98:99]
	v_mul_f64 v[98:99], v[225:226], s[40:41]
	v_add_f64 v[68:69], v[32:33], v[68:69]
	v_add_f64 v[70:71], v[34:35], v[70:71]
	v_fma_f64 v[32:33], v[122:123], s[26:27], v[86:87]
	v_fma_f64 v[34:35], v[104:105], s[16:17], -v[243:244]
	v_add_f64 v[32:33], v[32:33], v[84:85]
	v_add_f64 v[34:35], v[2:3], v[34:35]
	v_fma_f64 v[84:85], v[126:127], s[26:27], -v[98:99]
	v_add_f64 v[34:35], v[84:85], v[34:35]
	v_fma_f64 v[84:85], v[142:143], s[20:21], v[249:250]
	v_add_f64 v[32:33], v[84:85], v[32:33]
	v_fma_f64 v[84:85], v[144:145], s[20:21], -v[110:111]
	v_add_f64 v[34:35], v[84:85], v[34:35]
	v_fma_f64 v[84:85], v[156:157], s[2:3], v[245:246]
	;; [unrolled: 4-line block ×7, first 2 shown]
	v_fma_f64 v[34:35], v[122:123], s[24:25], v[130:131]
	v_add_f64 v[32:33], v[0:1], v[32:33]
	v_add_f64 v[32:33], v[34:35], v[32:33]
	v_fma_f64 v[34:35], v[104:105], s[20:21], -v[148:149]
	v_add_f64 v[34:35], v[2:3], v[34:35]
	v_add_f64 v[34:35], v[88:89], v[34:35]
	v_fma_f64 v[88:89], v[142:143], s[18:19], v[134:135]
	v_add_f64 v[32:33], v[88:89], v[32:33]
	v_fma_f64 v[88:89], v[144:145], s[18:19], -v[162:163]
	v_add_f64 v[34:35], v[88:89], v[34:35]
	v_fma_f64 v[88:89], v[156:157], s[10:11], v[132:133]
	v_add_f64 v[32:33], v[88:89], v[32:33]
	v_fma_f64 v[88:89], v[160:161], s[10:11], -v[154:155]
	;; [unrolled: 4-line block ×6, first 2 shown]
	v_add_f64 v[34:35], v[88:89], v[34:35]
	s_and_saveexec_b64 s[4:5], s[0:1]
	s_cbranch_execz .LBB0_7
; %bb.6:
	buffer_store_dword v92, off, s[64:67], 0 offset:368 ; 4-byte Folded Spill
	s_nop 0
	buffer_store_dword v93, off, s[64:67], 0 offset:372 ; 4-byte Folded Spill
	v_mul_f64 v[92:93], v[104:105], s[26:27]
	buffer_store_dword v94, off, s[64:67], 0 offset:376 ; 4-byte Folded Spill
	s_nop 0
	buffer_store_dword v95, off, s[64:67], 0 offset:380 ; 4-byte Folded Spill
	v_mul_f64 v[94:95], v[126:127], s[2:3]
	;; [unrolled: 4-line block ×4, first 2 shown]
	buffer_store_dword v186, off, s[64:67], 0 offset:392 ; 4-byte Folded Spill
	s_nop 0
	buffer_store_dword v187, off, s[64:67], 0 offset:396 ; 4-byte Folded Spill
	v_fma_f64 v[88:89], v[196:197], s[46:47], v[92:93]
	buffer_store_dword v188, off, s[64:67], 0 offset:400 ; 4-byte Folded Spill
	s_nop 0
	buffer_store_dword v189, off, s[64:67], 0 offset:404 ; 4-byte Folded Spill
	v_fma_f64 v[90:91], v[225:226], s[28:29], v[94:95]
	buffer_store_dword v190, off, s[64:67], 0 offset:408 ; 4-byte Folded Spill
	s_nop 0
	buffer_store_dword v191, off, s[64:67], 0 offset:412 ; 4-byte Folded Spill
	buffer_store_dword v198, off, s[64:67], 0 offset:464 ; 4-byte Folded Spill
	s_nop 0
	buffer_store_dword v199, off, s[64:67], 0 offset:468 ; 4-byte Folded Spill
	v_fma_f64 v[92:93], v[196:197], s[40:41], v[92:93]
	v_fma_f64 v[186:187], v[122:123], s[2:3], v[184:185]
	buffer_store_dword v200, off, s[64:67], 0 offset:480 ; 4-byte Folded Spill
	s_nop 0
	buffer_store_dword v201, off, s[64:67], 0 offset:484 ; 4-byte Folded Spill
	v_add_f64 v[88:89], v[2:3], v[88:89]
	v_fma_f64 v[94:95], v[225:226], s[52:53], v[94:95]
	buffer_store_dword v202, off, s[64:67], 0 offset:456 ; 4-byte Folded Spill
	s_nop 0
	buffer_store_dword v203, off, s[64:67], 0 offset:460 ; 4-byte Folded Spill
	buffer_store_dword v204, off, s[64:67], 0 offset:416 ; 4-byte Folded Spill
	s_nop 0
	buffer_store_dword v205, off, s[64:67], 0 offset:420 ; 4-byte Folded Spill
	;; [unrolled: 3-line block ×3, first 2 shown]
	v_add_f64 v[92:93], v[2:3], v[92:93]
	buffer_store_dword v212, off, s[64:67], 0 offset:440 ; 4-byte Folded Spill
	s_nop 0
	buffer_store_dword v213, off, s[64:67], 0 offset:444 ; 4-byte Folded Spill
	buffer_store_dword v217, off, s[64:67], 0 offset:496 ; 4-byte Folded Spill
	s_nop 0
	buffer_store_dword v218, off, s[64:67], 0 offset:500 ; 4-byte Folded Spill
	v_add_f64 v[88:89], v[90:91], v[88:89]
	v_fma_f64 v[90:91], v[102:103], s[26:27], v[182:183]
	buffer_store_dword v219, off, s[64:67], 0 offset:472 ; 4-byte Folded Spill
	s_nop 0
	buffer_store_dword v220, off, s[64:67], 0 offset:476 ; 4-byte Folded Spill
	buffer_store_dword v227, off, s[64:67], 0 offset:432 ; 4-byte Folded Spill
	s_nop 0
	buffer_store_dword v228, off, s[64:67], 0 offset:436 ; 4-byte Folded Spill
	;; [unrolled: 3-line block ×3, first 2 shown]
	v_add_f64 v[92:93], v[94:95], v[92:93]
	v_fma_f64 v[94:95], v[102:103], s[26:27], -v[182:183]
	v_fma_f64 v[182:183], v[122:123], s[2:3], -v[184:185]
	v_mul_f64 v[227:228], v[223:224], s[16:17]
	v_add_f64 v[90:91], v[0:1], v[90:91]
	v_mul_f64 v[229:230], v[180:181], s[58:59]
	v_add_f64 v[76:77], v[0:1], v[76:77]
	v_add_f64 v[78:79], v[2:3], v[78:79]
	buffer_store_dword v231, off, s[64:67], 0 offset:504 ; 4-byte Folded Spill
	s_nop 0
	buffer_store_dword v232, off, s[64:67], 0 offset:508 ; 4-byte Folded Spill
	v_add_f64 v[94:95], v[0:1], v[94:95]
	buffer_store_dword v241, off, s[64:67], 0 offset:512 ; 4-byte Folded Spill
	s_nop 0
	buffer_store_dword v242, off, s[64:67], 0 offset:516 ; 4-byte Folded Spill
	v_mul_f64 v[231:232], v[223:224], s[20:21]
	v_add_f64 v[90:91], v[186:187], v[90:91]
	v_mul_f64 v[186:187], v[144:145], s[24:25]
	v_fma_f64 v[184:185], v[221:222], s[16:17], -v[229:230]
	v_add_f64 v[80:81], v[76:77], v[80:81]
	v_add_f64 v[82:83], v[78:79], v[82:83]
	;; [unrolled: 1-line block ×3, first 2 shown]
	v_mul_f64 v[241:242], v[180:181], s[42:43]
	v_mul_f64 v[180:181], v[180:181], s[56:57]
	v_fma_f64 v[188:189], v[235:236], s[48:49], v[186:187]
	v_fma_f64 v[182:183], v[235:236], s[54:55], v[186:187]
	v_mul_f64 v[186:187], v[144:145], s[16:17]
	v_add_f64 v[80:81], v[80:81], v[64:65]
	v_add_f64 v[82:83], v[82:83], v[66:67]
	;; [unrolled: 1-line block ×3, first 2 shown]
	v_mul_f64 v[188:189], v[237:238], s[54:55]
	v_add_f64 v[92:93], v[182:183], v[92:93]
	v_add_f64 v[80:81], v[80:81], v[56:57]
	v_add_f64 v[82:83], v[82:83], v[58:59]
	v_fma_f64 v[190:191], v[142:143], s[24:25], v[188:189]
	v_fma_f64 v[182:183], v[142:143], s[24:25], -v[188:189]
	v_mul_f64 v[188:189], v[160:161], s[22:23]
	v_add_f64 v[80:81], v[80:81], v[52:53]
	v_add_f64 v[82:83], v[82:83], v[54:55]
	;; [unrolled: 1-line block ×3, first 2 shown]
	v_mul_f64 v[190:191], v[160:161], s[18:19]
	v_add_f64 v[94:95], v[182:183], v[94:95]
	v_add_f64 v[80:81], v[80:81], v[48:49]
	;; [unrolled: 1-line block ×3, first 2 shown]
	v_mul_f64 v[82:83], v[104:105], s[20:21]
	v_mul_f64 v[48:49], v[144:145], s[18:19]
	v_fma_f64 v[198:199], v[239:240], s[30:31], v[190:191]
	v_fma_f64 v[182:183], v[239:240], s[50:51], v[190:191]
	v_mul_f64 v[190:191], v[174:175], s[2:3]
	v_add_f64 v[6:7], v[50:51], v[6:7]
	v_add_f64 v[82:83], v[148:149], v[82:83]
	;; [unrolled: 1-line block ×5, first 2 shown]
	v_mul_f64 v[198:199], v[106:107], s[50:51]
	v_add_f64 v[92:93], v[182:183], v[92:93]
	v_add_f64 v[6:7], v[6:7], v[10:11]
	;; [unrolled: 1-line block ×4, first 2 shown]
	v_fma_f64 v[200:201], v[156:157], s[18:19], v[198:199]
	v_fma_f64 v[182:183], v[156:157], s[18:19], -v[198:199]
	v_mul_f64 v[198:199], v[194:195], s[26:27]
	v_add_f64 v[6:7], v[6:7], v[14:15]
	v_add_f64 v[4:5], v[4:5], v[12:13]
	;; [unrolled: 1-line block ×3, first 2 shown]
	v_mul_f64 v[200:201], v[174:175], s[22:23]
	v_add_f64 v[94:95], v[182:183], v[94:95]
	v_add_f64 v[6:7], v[6:7], v[18:19]
	;; [unrolled: 1-line block ×3, first 2 shown]
	v_fma_f64 v[202:203], v[100:101], s[60:61], v[200:201]
	v_fma_f64 v[182:183], v[100:101], s[36:37], v[200:201]
	v_mul_f64 v[200:201], v[210:211], s[18:19]
	v_add_f64 v[6:7], v[6:7], v[22:23]
	v_add_f64 v[4:5], v[4:5], v[20:21]
	;; [unrolled: 1-line block ×3, first 2 shown]
	v_mul_f64 v[202:203], v[124:125], s[36:37]
	v_add_f64 v[92:93], v[182:183], v[92:93]
	v_add_f64 v[6:7], v[6:7], v[26:27]
	v_add_f64 v[4:5], v[4:5], v[24:25]
	v_fma_f64 v[204:205], v[172:173], s[22:23], v[202:203]
	v_fma_f64 v[182:183], v[172:173], s[22:23], -v[202:203]
	v_mul_f64 v[202:203], v[215:216], s[54:55]
	v_add_f64 v[4:5], v[4:5], v[28:29]
	v_add_f64 v[6:7], v[6:7], v[30:31]
	;; [unrolled: 1-line block ×3, first 2 shown]
	v_mul_f64 v[204:205], v[194:195], s[10:11]
	v_add_f64 v[94:95], v[182:183], v[94:95]
	v_add_f64 v[4:5], v[4:5], v[36:37]
	v_add_f64 v[6:7], v[6:7], v[38:39]
	v_fma_f64 v[208:209], v[120:121], s[34:35], v[204:205]
	v_fma_f64 v[182:183], v[120:121], s[56:57], v[204:205]
	v_mul_f64 v[204:205], v[233:234], s[56:57]
	v_add_f64 v[4:5], v[4:5], v[40:41]
	v_add_f64 v[22:23], v[6:7], v[42:43]
	;; [unrolled: 1-line block ×3, first 2 shown]
	v_mul_f64 v[208:209], v[158:159], s[56:57]
	v_add_f64 v[92:93], v[182:183], v[92:93]
	v_fma_f64 v[212:213], v[192:193], s[10:11], v[208:209]
	v_add_f64 v[90:91], v[212:213], v[90:91]
	v_mul_f64 v[212:213], v[210:211], s[20:21]
	v_fma_f64 v[217:218], v[152:153], s[44:45], v[212:213]
	v_fma_f64 v[182:183], v[152:153], s[42:43], v[212:213]
	v_add_f64 v[88:89], v[217:218], v[88:89]
	v_mul_f64 v[217:218], v[176:177], s[42:43]
	v_add_f64 v[92:93], v[182:183], v[92:93]
	v_fma_f64 v[182:183], v[192:193], s[10:11], -v[208:209]
	v_fma_f64 v[208:209], v[122:123], s[10:11], v[204:205]
	v_fma_f64 v[219:220], v[206:207], s[20:21], v[217:218]
	v_add_f64 v[94:95], v[182:183], v[94:95]
	v_fma_f64 v[182:183], v[206:207], s[20:21], -v[217:218]
	v_add_f64 v[219:220], v[219:220], v[90:91]
	v_fma_f64 v[90:91], v[178:179], s[38:39], v[227:228]
	v_add_f64 v[182:183], v[182:183], v[94:95]
	v_fma_f64 v[94:95], v[178:179], s[58:59], v[227:228]
	;; [unrolled: 2-line block ×3, first 2 shown]
	v_add_f64 v[94:95], v[94:95], v[92:93]
	v_add_f64 v[92:93], v[184:185], v[182:183]
	v_mul_f64 v[182:183], v[104:105], s[24:25]
	v_mul_f64 v[184:185], v[126:127], s[10:11]
	v_add_f64 v[88:89], v[88:89], v[219:220]
	v_fma_f64 v[76:77], v[196:197], s[48:49], v[182:183]
	v_fma_f64 v[78:79], v[225:226], s[34:35], v[184:185]
	;; [unrolled: 1-line block ×4, first 2 shown]
	v_fma_f64 v[182:183], v[122:123], s[10:11], -v[204:205]
	v_fma_f64 v[184:185], v[221:222], s[20:21], -v[241:242]
	v_mul_f64 v[204:205], v[233:234], s[44:45]
	v_add_f64 v[76:77], v[2:3], v[76:77]
	v_add_f64 v[64:65], v[2:3], v[64:65]
	v_add_f64 v[76:77], v[78:79], v[76:77]
	v_fma_f64 v[78:79], v[235:236], s[58:59], v[186:187]
	v_add_f64 v[64:65], v[66:67], v[64:65]
	v_fma_f64 v[66:67], v[235:236], s[38:39], v[186:187]
	v_mul_f64 v[186:187], v[144:145], s[2:3]
	v_add_f64 v[76:77], v[78:79], v[76:77]
	v_fma_f64 v[78:79], v[239:240], s[36:37], v[188:189]
	v_add_f64 v[64:65], v[66:67], v[64:65]
	v_fma_f64 v[66:67], v[239:240], s[60:61], v[188:189]
	v_mul_f64 v[188:189], v[160:161], s[24:25]
	v_fma_f64 v[54:55], v[235:236], s[28:29], v[186:187]
	v_add_f64 v[76:77], v[78:79], v[76:77]
	v_fma_f64 v[78:79], v[100:101], s[52:53], v[190:191]
	v_add_f64 v[64:65], v[66:67], v[64:65]
	v_fma_f64 v[66:67], v[100:101], s[28:29], v[190:191]
	v_mul_f64 v[190:191], v[174:175], s[16:17]
	v_add_f64 v[76:77], v[78:79], v[76:77]
	v_fma_f64 v[78:79], v[120:121], s[46:47], v[198:199]
	v_add_f64 v[64:65], v[66:67], v[64:65]
	v_fma_f64 v[66:67], v[120:121], s[40:41], v[198:199]
	v_mul_f64 v[198:199], v[194:195], s[18:19]
	;; [unrolled: 5-line block ×3, first 2 shown]
	v_add_f64 v[76:77], v[78:79], v[76:77]
	v_fma_f64 v[78:79], v[102:103], s[24:25], v[202:203]
	v_add_f64 v[64:65], v[66:67], v[64:65]
	v_fma_f64 v[66:67], v[102:103], s[24:25], -v[202:203]
	v_mul_f64 v[202:203], v[215:216], s[36:37]
	v_mul_f64 v[214:215], v[223:224], s[10:11]
	v_add_f64 v[78:79], v[0:1], v[78:79]
	v_add_f64 v[66:67], v[0:1], v[66:67]
	;; [unrolled: 1-line block ×3, first 2 shown]
	v_mul_f64 v[208:209], v[237:238], s[38:39]
	v_add_f64 v[66:67], v[182:183], v[66:67]
	v_fma_f64 v[212:213], v[142:143], s[16:17], v[208:209]
	v_fma_f64 v[182:183], v[142:143], s[16:17], -v[208:209]
	v_fma_f64 v[208:209], v[122:123], s[20:21], v[204:205]
	v_add_f64 v[78:79], v[212:213], v[78:79]
	v_mul_f64 v[212:213], v[106:107], s[60:61]
	v_add_f64 v[66:67], v[182:183], v[66:67]
	v_mul_f64 v[106:107], v[106:107], s[54:55]
	v_fma_f64 v[217:218], v[156:157], s[22:23], v[212:213]
	v_fma_f64 v[182:183], v[156:157], s[22:23], -v[212:213]
	v_add_f64 v[78:79], v[217:218], v[78:79]
	v_mul_f64 v[217:218], v[124:125], s[28:29]
	v_add_f64 v[66:67], v[182:183], v[66:67]
	v_mul_f64 v[124:125], v[124:125], s[58:59]
	v_fma_f64 v[219:220], v[172:173], s[2:3], v[217:218]
	v_fma_f64 v[182:183], v[172:173], s[2:3], -v[217:218]
	;; [unrolled: 6-line block ×3, first 2 shown]
	v_add_f64 v[78:79], v[227:228], v[78:79]
	v_mul_f64 v[227:228], v[176:177], s[50:51]
	v_add_f64 v[66:67], v[182:183], v[66:67]
	v_mul_f64 v[176:177], v[176:177], s[40:41]
	v_fma_f64 v[182:183], v[206:207], s[18:19], -v[227:228]
	v_fma_f64 v[229:230], v[206:207], s[18:19], v[227:228]
	v_add_f64 v[182:183], v[182:183], v[66:67]
	v_fma_f64 v[66:67], v[178:179], s[42:43], v[231:232]
	v_add_f64 v[229:230], v[229:230], v[78:79]
	;; [unrolled: 2-line block ×3, first 2 shown]
	v_add_f64 v[64:65], v[184:185], v[182:183]
	v_mul_f64 v[182:183], v[104:105], s[22:23]
	v_mul_f64 v[184:185], v[126:127], s[20:21]
	v_add_f64 v[78:79], v[78:79], v[76:77]
	v_fma_f64 v[76:77], v[221:222], s[20:21], v[241:242]
	v_fma_f64 v[56:57], v[196:197], s[60:61], v[182:183]
	;; [unrolled: 1-line block ×5, first 2 shown]
	v_add_f64 v[76:77], v[76:77], v[229:230]
	v_add_f64 v[56:57], v[2:3], v[56:57]
	;; [unrolled: 1-line block ×4, first 2 shown]
	v_fma_f64 v[58:59], v[235:236], s[52:53], v[186:187]
	v_add_f64 v[52:53], v[182:183], v[52:53]
	v_fma_f64 v[182:183], v[239:240], s[54:55], v[188:189]
	v_add_f64 v[56:57], v[58:59], v[56:57]
	;; [unrolled: 2-line block ×7, first 2 shown]
	v_fma_f64 v[54:55], v[152:153], s[40:41], v[200:201]
	v_fma_f64 v[120:121], v[122:123], s[20:21], -v[204:205]
	v_add_f64 v[56:57], v[58:59], v[56:57]
	v_fma_f64 v[58:59], v[152:153], s[46:47], v[200:201]
	v_add_f64 v[52:53], v[100:101], v[52:53]
	v_fma_f64 v[100:101], v[178:179], s[56:57], v[214:215]
	v_mul_f64 v[152:153], v[160:161], s[26:27]
	v_add_f64 v[56:57], v[58:59], v[56:57]
	v_fma_f64 v[58:59], v[102:103], s[22:23], v[202:203]
	v_add_f64 v[52:53], v[54:55], v[52:53]
	v_fma_f64 v[54:55], v[102:103], s[22:23], -v[202:203]
	v_add_f64 v[58:59], v[0:1], v[58:59]
	v_add_f64 v[54:55], v[0:1], v[54:55]
	;; [unrolled: 1-line block ×3, first 2 shown]
	v_mul_f64 v[208:209], v[237:238], s[28:29]
	v_add_f64 v[54:55], v[120:121], v[54:55]
	v_fma_f64 v[212:213], v[142:143], s[2:3], v[208:209]
	v_fma_f64 v[120:121], v[142:143], s[2:3], -v[208:209]
	v_add_f64 v[58:59], v[212:213], v[58:59]
	v_fma_f64 v[212:213], v[156:157], s[24:25], v[106:107]
	v_add_f64 v[54:55], v[120:121], v[54:55]
	v_fma_f64 v[106:107], v[156:157], s[24:25], -v[106:107]
	v_fma_f64 v[120:121], v[221:222], s[10:11], -v[180:181]
	v_add_f64 v[58:59], v[212:213], v[58:59]
	v_fma_f64 v[212:213], v[172:173], s[16:17], v[124:125]
	v_add_f64 v[54:55], v[106:107], v[54:55]
	v_fma_f64 v[106:107], v[172:173], s[16:17], -v[124:125]
	v_mul_f64 v[124:125], v[126:127], s[26:27]
	v_add_f64 v[58:59], v[212:213], v[58:59]
	v_fma_f64 v[212:213], v[192:193], s[18:19], v[158:159]
	v_add_f64 v[54:55], v[106:107], v[54:55]
	v_fma_f64 v[106:107], v[192:193], s[18:19], -v[158:159]
	v_add_f64 v[98:99], v[98:99], v[124:125]
	v_mul_f64 v[158:159], v[174:175], s[24:25]
	v_add_f64 v[58:59], v[212:213], v[58:59]
	v_fma_f64 v[212:213], v[206:207], s[26:27], v[176:177]
	v_add_f64 v[54:55], v[106:107], v[54:55]
	v_fma_f64 v[106:107], v[206:207], s[26:27], -v[176:177]
	v_add_f64 v[212:213], v[212:213], v[58:59]
	v_fma_f64 v[58:59], v[178:179], s[34:35], v[214:215]
	v_add_f64 v[106:107], v[106:107], v[54:55]
	v_add_f64 v[54:55], v[100:101], v[52:53]
	v_mul_f64 v[100:101], v[126:127], s[24:25]
	v_mul_f64 v[178:179], v[223:224], s[2:3]
	v_add_f64 v[58:59], v[58:59], v[56:57]
	v_add_f64 v[52:53], v[120:121], v[106:107]
	v_mul_f64 v[106:107], v[102:103], s[20:21]
	v_add_f64 v[100:101], v[150:151], v[100:101]
	v_mul_f64 v[120:121], v[122:123], s[24:25]
	v_mul_f64 v[150:151], v[156:157], s[26:27]
	v_fma_f64 v[56:57], v[221:222], s[10:11], v[180:181]
	v_mul_f64 v[180:181], v[221:222], s[24:25]
	v_add_f64 v[106:107], v[106:107], -v[128:129]
	v_add_f64 v[82:83], v[100:101], v[82:83]
	v_mul_f64 v[100:101], v[160:161], s[10:11]
	v_add_f64 v[120:121], v[120:121], -v[130:131]
	v_mul_f64 v[128:129], v[210:211], s[16:17]
	v_add_f64 v[56:57], v[56:57], v[212:213]
	v_add_f64 v[106:107], v[0:1], v[106:107]
	;; [unrolled: 1-line block ×4, first 2 shown]
	v_mul_f64 v[82:83], v[174:175], s[26:27]
	v_add_f64 v[106:107], v[120:121], v[106:107]
	v_mul_f64 v[120:121], v[156:157], s[10:11]
	v_add_f64 v[48:49], v[100:101], v[48:49]
	v_add_f64 v[82:83], v[164:165], v[82:83]
	v_mul_f64 v[100:101], v[194:195], s[16:17]
	v_mul_f64 v[164:165], v[194:195], s[20:21]
	v_add_f64 v[120:121], v[120:121], -v[132:133]
	v_add_f64 v[48:49], v[82:83], v[48:49]
	v_add_f64 v[100:101], v[166:167], v[100:101]
	v_mul_f64 v[82:83], v[210:211], s[2:3]
	v_mul_f64 v[166:167], v[192:193], s[2:3]
	v_add_f64 v[48:49], v[100:101], v[48:49]
	v_add_f64 v[82:83], v[168:169], v[82:83]
	v_mul_f64 v[100:101], v[223:224], s[22:23]
	v_add_f64 v[48:49], v[82:83], v[48:49]
	v_mul_f64 v[82:83], v[142:143], s[18:19]
	;; [unrolled: 2-line block ×3, first 2 shown]
	v_add_f64 v[82:83], v[82:83], -v[134:135]
	v_add_f64 v[48:49], v[100:101], v[48:49]
	v_add_f64 v[82:83], v[82:83], v[106:107]
	v_mul_f64 v[106:107], v[172:173], s[26:27]
	v_add_f64 v[82:83], v[120:121], v[82:83]
	v_add_f64 v[106:107], v[106:107], -v[136:137]
	v_mul_f64 v[120:121], v[192:193], s[16:17]
	v_add_f64 v[82:83], v[106:107], v[82:83]
	v_add_f64 v[120:121], v[120:121], -v[138:139]
	;; [unrolled: 3-line block ×3, first 2 shown]
	v_mul_f64 v[120:121], v[221:222], s[22:23]
	v_add_f64 v[106:107], v[106:107], v[82:83]
	v_mul_f64 v[82:83], v[144:145], s[20:21]
	v_add_f64 v[120:121], v[120:121], -v[146:147]
	v_add_f64 v[82:83], v[110:111], v[82:83]
	v_mul_f64 v[110:111], v[104:105], s[16:17]
	v_add_f64 v[110:111], v[243:244], v[110:111]
	v_add_f64 v[110:111], v[2:3], v[110:111]
	;; [unrolled: 1-line block ×3, first 2 shown]
	v_mul_f64 v[110:111], v[160:161], s[2:3]
	v_add_f64 v[82:83], v[82:83], v[98:99]
	v_add_f64 v[108:109], v[108:109], v[110:111]
	v_mul_f64 v[98:99], v[174:175], s[10:11]
	v_mul_f64 v[110:111], v[102:103], s[16:17]
	v_add_f64 v[82:83], v[108:109], v[82:83]
	v_add_f64 v[98:99], v[112:113], v[98:99]
	v_mul_f64 v[108:109], v[194:195], s[24:25]
	buffer_load_dword v112, off, s[64:67], 0 offset:496 ; 4-byte Folded Reload
	buffer_load_dword v113, off, s[64:67], 0 offset:500 ; 4-byte Folded Reload
	v_add_f64 v[82:83], v[98:99], v[82:83]
	v_add_f64 v[108:109], v[114:115], v[108:109]
	buffer_load_dword v114, off, s[64:67], 0 offset:360 ; 4-byte Folded Reload
	buffer_load_dword v115, off, s[64:67], 0 offset:364 ; 4-byte Folded Reload
	v_mul_f64 v[98:99], v[210:211], s[22:23]
	v_add_f64 v[82:83], v[108:109], v[82:83]
	v_mul_f64 v[108:109], v[223:224], s[18:19]
	v_add_f64 v[98:99], v[116:117], v[98:99]
	v_add_f64 v[108:109], v[118:119], v[108:109]
	v_add_f64 v[82:83], v[98:99], v[82:83]
	v_mul_f64 v[98:99], v[142:143], s[20:21]
	v_mul_f64 v[118:119], v[221:222], s[18:19]
	v_add_f64 v[82:83], v[108:109], v[82:83]
	v_add_f64 v[98:99], v[98:99], -v[249:250]
	v_add_f64 v[118:119], v[118:119], -v[247:248]
	s_waitcnt vmcnt(2)
	v_add_f64 v[110:111], v[110:111], -v[112:113]
	v_mul_f64 v[112:113], v[122:123], s[26:27]
	v_add_f64 v[110:111], v[0:1], v[110:111]
	s_waitcnt vmcnt(0)
	v_add_f64 v[112:113], v[112:113], -v[114:115]
	buffer_load_dword v114, off, s[64:67], 0 offset:480 ; 4-byte Folded Reload
	buffer_load_dword v115, off, s[64:67], 0 offset:484 ; 4-byte Folded Reload
	;; [unrolled: 1-line block ×4, first 2 shown]
	v_add_f64 v[110:111], v[112:113], v[110:111]
	v_mul_f64 v[112:113], v[156:157], s[2:3]
	v_add_f64 v[98:99], v[98:99], v[110:111]
	v_add_f64 v[112:113], v[112:113], -v[245:246]
	v_mul_f64 v[110:111], v[172:173], s[10:11]
	v_add_f64 v[98:99], v[112:113], v[98:99]
	v_mul_f64 v[112:113], v[104:105], s[10:11]
	v_add_f64 v[110:111], v[110:111], -v[253:254]
	v_add_f64 v[98:99], v[110:111], v[98:99]
	v_mul_f64 v[110:111], v[144:145], s[26:27]
	s_waitcnt vmcnt(2)
	v_add_f64 v[112:113], v[114:115], v[112:113]
	v_mul_f64 v[114:115], v[192:193], s[24:25]
	v_add_f64 v[112:113], v[2:3], v[112:113]
	v_add_f64 v[96:97], v[114:115], -v[96:97]
	v_mul_f64 v[114:115], v[126:127], s[22:23]
	v_add_f64 v[96:97], v[96:97], v[98:99]
	s_waitcnt vmcnt(0)
	v_add_f64 v[114:115], v[116:117], v[114:115]
	buffer_load_dword v116, off, s[64:67], 0 offset:104 ; 4-byte Folded Reload
	buffer_load_dword v117, off, s[64:67], 0 offset:108 ; 4-byte Folded Reload
	;; [unrolled: 1-line block ×18, first 2 shown]
	v_add_f64 v[112:113], v[114:115], v[112:113]
	v_mul_f64 v[114:115], v[160:161], s[20:21]
	buffer_load_dword v148, off, s[64:67], 0 offset:32 ; 4-byte Folded Reload
	buffer_load_dword v149, off, s[64:67], 0 offset:36 ; 4-byte Folded Reload
	;; [unrolled: 1-line block ×4, first 2 shown]
	v_mul_f64 v[98:99], v[104:105], s[2:3]
	v_mul_f64 v[104:105], v[104:105], s[18:19]
	s_waitcnt vmcnt(20)
	v_add_f64 v[110:111], v[116:117], v[110:111]
	s_waitcnt vmcnt(18)
	v_add_f64 v[114:115], v[124:125], v[114:115]
	v_mul_f64 v[124:125], v[174:175], s[18:19]
	v_mul_f64 v[116:117], v[206:207], s[22:23]
	s_waitcnt vmcnt(14)
	v_add_f64 v[128:129], v[132:133], v[128:129]
	v_mul_f64 v[132:133], v[122:123], s[18:19]
	s_waitcnt vmcnt(6)
	v_add_f64 v[104:105], v[140:141], v[104:105]
	v_add_f64 v[110:111], v[110:111], v[112:113]
	v_mul_f64 v[112:113], v[102:103], s[2:3]
	v_add_f64 v[124:125], v[130:131], v[124:125]
	v_add_f64 v[116:117], v[116:117], -v[251:252]
	v_mul_f64 v[130:131], v[194:195], s[2:3]
	v_mul_f64 v[140:141], v[144:145], s[10:11]
	;; [unrolled: 1-line block ×3, first 2 shown]
	v_add_f64 v[104:105], v[2:3], v[104:105]
	v_add_f64 v[110:111], v[114:115], v[110:111]
	v_mul_f64 v[114:115], v[102:103], s[18:19]
	v_mul_f64 v[102:103], v[102:103], s[10:11]
	v_add_f64 v[96:97], v[116:117], v[96:97]
	v_mul_f64 v[116:117], v[156:157], s[20:21]
	v_add_f64 v[130:131], v[134:135], v[130:131]
	v_mul_f64 v[134:135], v[126:127], s[18:19]
	v_mul_f64 v[126:127], v[126:127], s[16:17]
	v_add_f64 v[110:111], v[124:125], v[110:111]
	v_mul_f64 v[124:125], v[122:123], s[16:17]
	v_mul_f64 v[122:123], v[122:123], s[22:23]
	v_add_f64 v[102:103], v[102:103], -v[138:139]
	v_mul_f64 v[138:139], v[142:143], s[26:27]
	v_add_f64 v[116:117], v[116:117], -v[136:137]
	v_mul_f64 v[136:137], v[142:143], s[10:11]
	v_mul_f64 v[142:143], v[142:143], s[22:23]
	v_add_f64 v[110:111], v[130:131], v[110:111]
	v_mul_f64 v[130:131], v[223:224], s[24:25]
	s_waitcnt vmcnt(4)
	v_add_f64 v[122:123], v[122:123], -v[146:147]
	v_mul_f64 v[146:147], v[156:157], s[16:17]
	v_add_f64 v[102:103], v[0:1], v[102:103]
	buffer_load_dword v156, off, s[64:67], 0 offset:16 ; 4-byte Folded Reload
	buffer_load_dword v157, off, s[64:67], 0 offset:20 ; 4-byte Folded Reload
	;; [unrolled: 1-line block ×6, first 2 shown]
	s_waitcnt vmcnt(8)
	v_add_f64 v[138:139], v[138:139], -v[148:149]
	v_mul_f64 v[148:149], v[160:161], s[16:17]
	v_mul_f64 v[160:161], v[172:173], s[18:19]
	v_add_f64 v[110:111], v[128:129], v[110:111]
	v_add_f64 v[102:103], v[122:123], v[102:103]
	v_mul_f64 v[122:123], v[174:175], s[20:21]
	buffer_load_dword v174, off, s[64:67], 0 offset:168 ; 4-byte Folded Reload
	buffer_load_dword v175, off, s[64:67], 0 offset:172 ; 4-byte Folded Reload
	;; [unrolled: 1-line block ×12, first 2 shown]
	v_add_f64 v[102:103], v[138:139], v[102:103]
	buffer_load_dword v80, off, s[64:67], 0 offset:296 ; 4-byte Folded Reload
	buffer_load_dword v81, off, s[64:67], 0 offset:300 ; 4-byte Folded Reload
	s_waitcnt vmcnt(20)
	v_add_f64 v[126:127], v[154:155], v[126:127]
	v_mul_f64 v[154:155], v[172:173], s[20:21]
	v_mul_f64 v[138:139], v[194:195], s[22:23]
	v_add_f64 v[102:103], v[116:117], v[102:103]
	v_mul_f64 v[116:117], v[206:207], s[10:11]
	v_add_f64 v[104:105], v[126:127], v[104:105]
	v_mul_f64 v[126:127], v[192:193], s[22:23]
	s_waitcnt vmcnt(18)
	v_add_f64 v[144:145], v[156:157], v[144:145]
	v_mul_f64 v[156:157], v[172:173], s[24:25]
	s_waitcnt vmcnt(14)
	v_add_f64 v[160:161], v[160:161], -v[168:169]
	v_add_f64 v[152:153], v[162:163], v[152:153]
	v_mul_f64 v[162:163], v[192:193], s[20:21]
	v_mul_f64 v[168:169], v[210:211], s[24:25]
	;; [unrolled: 1-line block ×3, first 2 shown]
	v_add_f64 v[104:105], v[144:145], v[104:105]
	v_mul_f64 v[144:145], v[206:207], s[24:25]
	v_add_f64 v[102:103], v[160:161], v[102:103]
	s_waitcnt vmcnt(8)
	v_add_f64 v[100:101], v[100:101], v[130:131]
	s_waitcnt vmcnt(6)
	v_add_f64 v[108:109], v[166:167], -v[108:109]
	v_add_f64 v[164:165], v[176:177], v[164:165]
	v_mul_f64 v[176:177], v[221:222], s[2:3]
	s_waitcnt vmcnt(2)
	v_add_f64 v[50:51], v[180:181], -v[50:51]
	v_add_f64 v[104:105], v[152:153], v[104:105]
	v_mul_f64 v[152:153], v[223:224], s[26:27]
	s_waitcnt vmcnt(0)
	v_add_f64 v[80:81], v[172:173], -v[80:81]
	v_add_f64 v[158:159], v[174:175], v[158:159]
	v_add_f64 v[102:103], v[108:109], v[102:103]
	buffer_load_dword v108, off, s[64:67], 0 offset:328 ; 4-byte Folded Reload
	buffer_load_dword v109, off, s[64:67], 0 offset:332 ; 4-byte Folded Reload
	;; [unrolled: 1-line block ×8, first 2 shown]
	v_mul_f64 v[174:175], v[221:222], s[26:27]
	v_add_f64 v[128:129], v[128:129], v[170:171]
	v_add_f64 v[104:105], v[158:159], v[104:105]
	;; [unrolled: 1-line block ×4, first 2 shown]
	s_waitcnt vmcnt(6)
	v_add_f64 v[108:109], v[108:109], v[178:179]
	s_waitcnt vmcnt(4)
	v_add_f64 v[98:99], v[130:131], v[98:99]
	s_waitcnt vmcnt(2)
	v_add_f64 v[8:9], v[112:113], -v[8:9]
	s_waitcnt vmcnt(0)
	v_add_f64 v[10:11], v[114:115], -v[10:11]
	buffer_load_dword v112, off, s[64:67], 0 offset:408 ; 4-byte Folded Reload
	buffer_load_dword v113, off, s[64:67], 0 offset:412 ; 4-byte Folded Reload
	;; [unrolled: 1-line block ×4, first 2 shown]
	v_add_f64 v[6:7], v[108:109], v[104:105]
	v_add_f64 v[2:3], v[2:3], v[98:99]
	buffer_load_dword v98, off, s[64:67], 0 offset:392 ; 4-byte Folded Reload
	buffer_load_dword v99, off, s[64:67], 0 offset:396 ; 4-byte Folded Reload
	v_add_f64 v[8:9], v[0:1], v[8:9]
	v_add_f64 v[0:1], v[0:1], v[10:11]
	buffer_load_dword v10, off, s[64:67], 0 offset:440 ; 4-byte Folded Reload
	buffer_load_dword v11, off, s[64:67], 0 offset:444 ; 4-byte Folded Reload
	buffer_load_dword v12, off, s[64:67], 0 offset:424 ; 4-byte Folded Reload
	buffer_load_dword v13, off, s[64:67], 0 offset:428 ; 4-byte Folded Reload
	buffer_load_dword v14, off, s[64:67], 0 offset:416 ; 4-byte Folded Reload
	buffer_load_dword v15, off, s[64:67], 0 offset:420 ; 4-byte Folded Reload
	buffer_load_dword v16, off, s[64:67], 0 offset:512 ; 4-byte Folded Reload
	buffer_load_dword v17, off, s[64:67], 0 offset:516 ; 4-byte Folded Reload
	buffer_load_dword v18, off, s[64:67], 0 offset:504 ; 4-byte Folded Reload
	buffer_load_dword v19, off, s[64:67], 0 offset:508 ; 4-byte Folded Reload
	s_waitcnt vmcnt(14)
	v_add_f64 v[112:113], v[124:125], -v[112:113]
	s_waitcnt vmcnt(12)
	v_add_f64 v[114:115], v[114:115], v[134:135]
	s_waitcnt vmcnt(10)
	v_add_f64 v[98:99], v[132:133], -v[98:99]
	v_add_f64 v[0:1], v[112:113], v[0:1]
	v_add_f64 v[2:3], v[114:115], v[2:3]
	s_waitcnt vmcnt(6)
	v_add_f64 v[12:13], v[12:13], v[140:141]
	v_add_f64 v[10:11], v[142:143], -v[10:11]
	s_waitcnt vmcnt(4)
	v_add_f64 v[14:15], v[136:137], -v[14:15]
	s_waitcnt vmcnt(2)
	v_add_f64 v[16:17], v[150:151], -v[16:17]
	v_add_f64 v[8:9], v[98:99], v[8:9]
	s_waitcnt vmcnt(0)
	v_add_f64 v[18:19], v[18:19], v[148:149]
	v_add_f64 v[2:3], v[12:13], v[2:3]
	buffer_load_dword v12, off, s[64:67], 0 offset:432 ; 4-byte Folded Reload
	buffer_load_dword v13, off, s[64:67], 0 offset:436 ; 4-byte Folded Reload
	v_add_f64 v[0:1], v[10:11], v[0:1]
	buffer_load_dword v10, off, s[64:67], 0 offset:72 ; 4-byte Folded Reload
	buffer_load_dword v11, off, s[64:67], 0 offset:76 ; 4-byte Folded Reload
	;; [unrolled: 3-line block ×4, first 2 shown]
	v_add_f64 v[0:1], v[16:17], v[0:1]
	s_waitcnt vmcnt(6)
	v_add_f64 v[12:13], v[146:147], -v[12:13]
	s_waitcnt vmcnt(4)
	v_add_f64 v[10:11], v[156:157], -v[10:11]
	s_waitcnt vmcnt(2)
	v_add_f64 v[14:15], v[14:15], v[122:123]
	v_add_f64 v[8:9], v[12:13], v[8:9]
	buffer_load_dword v12, off, s[64:67], 0 offset:144 ; 4-byte Folded Reload
	buffer_load_dword v13, off, s[64:67], 0 offset:148 ; 4-byte Folded Reload
	;; [unrolled: 1-line block ×4, first 2 shown]
	s_waitcnt vmcnt(4)
	v_add_f64 v[18:19], v[154:155], -v[18:19]
	v_add_f64 v[2:3], v[14:15], v[2:3]
	v_add_f64 v[0:1], v[10:11], v[0:1]
	buffer_load_dword v14, off, s[64:67], 0 offset:120 ; 4-byte Folded Reload
	buffer_load_dword v15, off, s[64:67], 0 offset:124 ; 4-byte Folded Reload
	;; [unrolled: 1-line block ×4, first 2 shown]
	v_add_f64 v[8:9], v[18:19], v[8:9]
	buffer_load_dword v18, off, s[64:67], 0 offset:232 ; 4-byte Folded Reload
	buffer_load_dword v19, off, s[64:67], 0 offset:236 ; 4-byte Folded Reload
	s_waitcnt vmcnt(8)
	v_add_f64 v[12:13], v[162:163], -v[12:13]
	s_waitcnt vmcnt(6)
	v_add_f64 v[16:17], v[16:17], v[138:139]
	s_waitcnt vmcnt(4)
	v_add_f64 v[14:15], v[126:127], -v[14:15]
	s_waitcnt vmcnt(2)
	v_add_f64 v[10:11], v[116:117], -v[10:11]
	v_add_f64 v[0:1], v[12:13], v[0:1]
	v_add_f64 v[2:3], v[16:17], v[2:3]
	buffer_load_dword v16, off, s[64:67], 0 offset:216 ; 4-byte Folded Reload
	buffer_load_dword v17, off, s[64:67], 0 offset:220 ; 4-byte Folded Reload
	;; [unrolled: 1-line block ×4, first 2 shown]
	s_waitcnt vmcnt(4)
	v_add_f64 v[18:19], v[18:19], v[168:169]
	v_add_f64 v[8:9], v[14:15], v[8:9]
	;; [unrolled: 1-line block ×4, first 2 shown]
	s_waitcnt vmcnt(2)
	v_add_f64 v[16:17], v[144:145], -v[16:17]
	s_waitcnt vmcnt(0)
	v_add_f64 v[20:21], v[176:177], -v[12:13]
	buffer_load_dword v12, off, s[64:67], 0 offset:288 ; 4-byte Folded Reload
	buffer_load_dword v13, off, s[64:67], 0 offset:292 ; 4-byte Folded Reload
	buffer_load_dword v2, off, s[64:67], 0 offset:280 ; 4-byte Folded Reload
	buffer_load_dword v3, off, s[64:67], 0 offset:284 ; 4-byte Folded Reload
	v_add_f64 v[8:9], v[16:17], v[8:9]
	v_add_f64 v[16:17], v[80:81], v[102:103]
	;; [unrolled: 1-line block ×3, first 2 shown]
	s_waitcnt vmcnt(2)
	v_add_f64 v[12:13], v[12:13], v[152:153]
	s_waitcnt vmcnt(0)
	v_add_f64 v[18:19], v[174:175], -v[2:3]
	v_add_f64 v[2:3], v[100:101], v[110:111]
	v_add_f64 v[10:11], v[12:13], v[14:15]
	;; [unrolled: 1-line block ×5, first 2 shown]
	buffer_load_dword v16, off, s[64:67], 0 ; 4-byte Folded Reload
	v_add_f64 v[14:15], v[22:23], v[46:47]
	v_add_f64 v[8:9], v[18:19], v[8:9]
	;; [unrolled: 1-line block ×3, first 2 shown]
	s_waitcnt vmcnt(0)
	v_mul_lo_u16_e32 v16, 17, v16
	v_add_lshl_u32 v16, v255, v16, 4
	ds_write_b128 v16, v[12:15]
	ds_write_b128 v16, v[8:11] offset:16
	ds_write_b128 v16, v[4:7] offset:32
	;; [unrolled: 1-line block ×16, first 2 shown]
.LBB0_7:
	s_or_b64 exec, exec, s[4:5]
	s_waitcnt lgkmcnt(0)
	s_barrier
	buffer_load_dword v0, off, s[64:67], 0  ; 4-byte Folded Reload
                                        ; implicit-def: $vgpr96_vgpr97
	s_waitcnt vmcnt(0)
	v_add_lshl_u32 v214, v255, v0, 4
	ds_read_b128 v[44:47], v214
	ds_read_b128 v[40:43], v214 offset:1632
	ds_read_b128 v[112:115], v214 offset:3536
	;; [unrolled: 1-line block ×11, first 2 shown]
	v_cmp_gt_u16_e64 s[2:3], 17, v0
	s_and_saveexec_b64 s[4:5], s[2:3]
	s_cbranch_execz .LBB0_9
; %bb.8:
	ds_read_b128 v[32:35], v214 offset:3264
	ds_read_b128 v[84:87], v214 offset:6800
	ds_read_b128 v[68:71], v214 offset:10336
	ds_read_b128 v[60:63], v214 offset:13872
	ds_read_b128 v[72:75], v214 offset:17408
	ds_read_b128 v[96:99], v214 offset:20944
.LBB0_9:
	s_or_b64 exec, exec, s[4:5]
	buffer_load_dword v6, off, s[64:67], 0  ; 4-byte Folded Reload
	s_movk_i32 s4, 0xf1
	s_movk_i32 s5, 0x50
	s_mov_b32 s17, 0xbfebb67a
	s_waitcnt vmcnt(0)
	v_mul_lo_u16_sdwa v0, v6, s4 dst_sel:DWORD dst_unused:UNUSED_PAD src0_sel:BYTE_0 src1_sel:DWORD
	v_lshrrev_b16_e32 v8, 12, v0
	v_mul_lo_u16_e32 v0, 17, v8
	v_sub_u16_e32 v0, v6, v0
	v_and_b32_e32 v9, 0xff, v0
	v_mov_b32_e32 v0, s8
	v_mov_b32_e32 v1, s9
	v_mad_u64_u32 v[2:3], s[10:11], v9, s5, v[0:1]
	v_add_u32_e32 v4, 0xcc, v6
	s_mov_b32 s10, 0xf0f1
	v_mul_u32_u24_sdwa v5, v4, s10 dst_sel:DWORD dst_unused:UNUSED_PAD src0_sel:WORD_0 src1_sel:DWORD
	v_lshrrev_b32_e32 v5, 20, v5
	v_mul_lo_u16_e32 v5, 17, v5
	v_sub_u16_e32 v4, v4, v5
	buffer_store_dword v4, off, s[64:67], 0 offset:32 ; 4-byte Folded Spill
	v_mul_lo_u16_e32 v4, 0x50, v4
	v_mov_b32_e32 v5, s9
	v_add_co_u32_e32 v4, vcc, s8, v4
	v_addc_co_u32_e32 v5, vcc, 0, v5, vcc
	global_load_dwordx4 v[14:17], v[4:5], off
	global_load_dwordx4 v[26:29], v[4:5], off offset:16
	global_load_dwordx4 v[18:21], v[4:5], off offset:48
	;; [unrolled: 1-line block ×6, first 2 shown]
	global_load_dwordx4 v[48:51], v[2:3], off
	global_load_dwordx4 v[36:39], v[4:5], off offset:64
	v_add_u16_e32 v4, 0x66, v6
	v_mul_lo_u16_sdwa v5, v4, s4 dst_sel:DWORD dst_unused:UNUSED_PAD src0_sel:BYTE_0 src1_sel:DWORD
	v_lshrrev_b16_e32 v12, 12, v5
	v_mul_lo_u16_e32 v5, 17, v12
	v_sub_u16_e32 v4, v4, v5
	v_and_b32_e32 v13, 0xff, v4
	v_mad_u64_u32 v[0:1], s[4:5], v13, s5, v[0:1]
	global_load_dwordx4 v[80:83], v[2:3], off offset:64
	global_load_dwordx4 v[76:79], v[0:1], off
	global_load_dwordx4 v[64:67], v[0:1], off offset:16
	global_load_dwordx4 v[56:59], v[0:1], off offset:32
	;; [unrolled: 1-line block ×4, first 2 shown]
	s_load_dwordx4 s[4:7], s[6:7], 0x0
	s_mov_b32 s10, 0xe8584caa
	s_mov_b32 s11, 0x3febb67a
	;; [unrolled: 1-line block ×3, first 2 shown]
	v_mul_u32_u24_e32 v8, 0x66, v8
	v_add_u32_e32 v8, v8, v9
	v_add_lshl_u32 v8, v255, v8, 4
	s_waitcnt vmcnt(14) lgkmcnt(0)
	v_mul_f64 v[0:1], v[86:87], v[16:17]
	s_waitcnt vmcnt(13)
	v_mul_f64 v[4:5], v[70:71], v[28:29]
	v_mul_f64 v[2:3], v[84:85], v[16:17]
	s_waitcnt vmcnt(11)
	v_mul_f64 v[10:11], v[62:63], v[24:25]
	v_mul_f64 v[6:7], v[68:69], v[28:29]
	;; [unrolled: 1-line block ×5, first 2 shown]
	v_fma_f64 v[182:183], v[84:85], v[14:15], -v[0:1]
	buffer_store_dword v14, off, s[64:67], 0 offset:168 ; 4-byte Folded Spill
	s_nop 0
	buffer_store_dword v15, off, s[64:67], 0 offset:172 ; 4-byte Folded Spill
	buffer_store_dword v16, off, s[64:67], 0 offset:176 ; 4-byte Folded Spill
	buffer_store_dword v17, off, s[64:67], 0 offset:180 ; 4-byte Folded Spill
	v_fma_f64 v[4:5], v[68:69], v[26:27], -v[4:5]
	buffer_store_dword v26, off, s[64:67], 0 offset:216 ; 4-byte Folded Spill
	s_nop 0
	buffer_store_dword v27, off, s[64:67], 0 offset:220 ; 4-byte Folded Spill
	buffer_store_dword v28, off, s[64:67], 0 offset:224 ; 4-byte Folded Spill
	buffer_store_dword v29, off, s[64:67], 0 offset:228 ; 4-byte Folded Spill
	;; [unrolled: 6-line block ×4, first 2 shown]
	s_waitcnt vmcnt(24)
	v_mul_f64 v[146:147], v[118:119], v[198:199]
	v_mul_f64 v[150:151], v[122:123], v[194:195]
	v_mul_f64 v[148:149], v[116:117], v[198:199]
	v_mul_f64 v[152:153], v[120:121], v[194:195]
	v_mul_f64 v[154:155], v[126:127], v[190:191]
	v_mul_f64 v[156:157], v[124:125], v[190:191]
	s_waitcnt vmcnt(16)
	v_mul_f64 v[178:179], v[90:91], v[186:187]
	v_mul_f64 v[180:181], v[88:89], v[186:187]
	;; [unrolled: 1-line block ×10, first 2 shown]
	v_fma_f64 v[138:139], v[96:97], v[36:37], -v[138:139]
	v_mul_f64 v[162:163], v[102:103], v[78:79]
	v_mul_f64 v[164:165], v[100:101], v[78:79]
	v_fma_f64 v[96:97], v[130:131], v[80:81], v[160:161]
	v_fma_f64 v[0:1], v[112:113], v[48:49], -v[142:143]
	v_fma_f64 v[60:61], v[114:115], v[48:49], v[144:145]
	v_mul_f64 v[166:167], v[106:107], v[66:67]
	v_mul_f64 v[174:175], v[94:95], v[54:55]
	v_fma_f64 v[108:109], v[108:109], v[56:57], -v[170:171]
	v_fma_f64 v[110:111], v[110:111], v[56:57], v[172:173]
	v_mul_f64 v[168:169], v[104:105], v[66:67]
	v_mul_f64 v[176:177], v[92:93], v[54:55]
	v_fma_f64 v[100:101], v[100:101], v[76:77], -v[162:163]
	v_fma_f64 v[102:103], v[102:103], v[76:77], v[164:165]
	v_fma_f64 v[104:105], v[104:105], v[64:65], -v[166:167]
	v_fma_f64 v[92:93], v[92:93], v[52:53], -v[174:175]
	v_fma_f64 v[106:107], v[106:107], v[64:65], v[168:169]
	v_fma_f64 v[94:95], v[94:95], v[52:53], v[176:177]
	;; [unrolled: 1-line block ×3, first 2 shown]
	v_fma_f64 v[86:87], v[128:129], v[80:81], -v[158:159]
	v_fma_f64 v[6:7], v[70:71], v[26:27], v[6:7]
	v_fma_f64 v[70:71], v[120:121], v[192:193], -v[150:151]
	v_fma_f64 v[132:133], v[62:63], v[22:23], v[132:133]
	v_fma_f64 v[62:63], v[116:117], v[196:197], -v[146:147]
	buffer_store_dword v196, off, s[64:67], 0 offset:104 ; 4-byte Folded Spill
	s_nop 0
	buffer_store_dword v197, off, s[64:67], 0 offset:108 ; 4-byte Folded Spill
	buffer_store_dword v198, off, s[64:67], 0 offset:112 ; 4-byte Folded Spill
	;; [unrolled: 1-line block ×4, first 2 shown]
	s_nop 0
	buffer_store_dword v193, off, s[64:67], 0 offset:76 ; 4-byte Folded Spill
	buffer_store_dword v194, off, s[64:67], 0 offset:80 ; 4-byte Folded Spill
	;; [unrolled: 1-line block ×3, first 2 shown]
	v_fma_f64 v[136:137], v[74:75], v[18:19], v[136:137]
	v_fma_f64 v[74:75], v[124:125], v[188:189], -v[154:155]
	buffer_store_dword v188, off, s[64:67], 0 offset:56 ; 4-byte Folded Spill
	s_nop 0
	buffer_store_dword v189, off, s[64:67], 0 offset:60 ; 4-byte Folded Spill
	buffer_store_dword v190, off, s[64:67], 0 offset:64 ; 4-byte Folded Spill
	;; [unrolled: 1-line block ×3, first 2 shown]
	v_fma_f64 v[124:125], v[88:89], v[184:185], -v[178:179]
	buffer_store_dword v184, off, s[64:67], 0 offset:40 ; 4-byte Folded Spill
	s_nop 0
	buffer_store_dword v185, off, s[64:67], 0 offset:44 ; 4-byte Folded Spill
	buffer_store_dword v186, off, s[64:67], 0 offset:48 ; 4-byte Folded Spill
	;; [unrolled: 1-line block ×4, first 2 shown]
	s_nop 0
	buffer_store_dword v37, off, s[64:67], 0 offset:236 ; 4-byte Folded Spill
	buffer_store_dword v38, off, s[64:67], 0 offset:240 ; 4-byte Folded Spill
	;; [unrolled: 1-line block ×3, first 2 shown]
	v_add_f64 v[116:117], v[70:71], v[86:87]
	v_add_f64 v[112:113], v[62:63], v[74:75]
	;; [unrolled: 1-line block ×3, first 2 shown]
	v_fma_f64 v[116:117], v[116:117], -0.5, v[0:1]
	v_add_f64 v[0:1], v[0:1], v[70:71]
	v_add_f64 v[0:1], v[0:1], v[86:87]
	v_fma_f64 v[68:69], v[118:119], v[196:197], v[148:149]
	v_fma_f64 v[72:73], v[122:123], v[192:193], v[152:153]
	v_add_f64 v[118:119], v[44:45], v[62:63]
	v_fma_f64 v[44:45], v[112:113], -0.5, v[44:45]
	v_fma_f64 v[84:85], v[126:127], v[188:189], v[156:157]
	v_add_f64 v[112:113], v[70:71], -v[86:87]
	v_fma_f64 v[126:127], v[90:91], v[184:185], v[180:181]
	v_add_f64 v[62:63], v[62:63], -v[74:75]
	v_add_f64 v[114:115], v[72:73], v[96:97]
	v_add_f64 v[122:123], v[72:73], -v[96:97]
	v_add_f64 v[90:91], v[118:119], v[74:75]
	;; [unrolled: 2-line block ×3, first 2 shown]
	v_add_f64 v[68:69], v[46:47], v[68:69]
	v_fma_f64 v[114:115], v[114:115], -0.5, v[60:61]
	v_fma_f64 v[128:129], v[122:123], s[16:17], v[116:117]
	v_fma_f64 v[116:117], v[122:123], s[10:11], v[116:117]
	;; [unrolled: 1-line block ×4, first 2 shown]
	v_fma_f64 v[46:47], v[88:89], -0.5, v[46:47]
	v_add_f64 v[60:61], v[60:61], v[72:73]
	v_fma_f64 v[44:45], v[112:113], s[16:17], v[114:115]
	v_fma_f64 v[88:89], v[112:113], s[10:11], v[114:115]
	v_mul_f64 v[74:75], v[128:129], -0.5
	v_add_f64 v[112:113], v[68:69], v[84:85]
	v_mul_f64 v[72:73], v[116:117], s[16:17]
	v_fma_f64 v[114:115], v[62:63], s[16:17], v[46:47]
	v_add_f64 v[86:87], v[60:61], v[96:97]
	v_mul_f64 v[70:71], v[44:45], s[10:11]
	v_mul_f64 v[68:69], v[88:89], -0.5
	v_fma_f64 v[74:75], v[88:89], s[10:11], v[74:75]
	v_fma_f64 v[96:97], v[44:45], 0.5, v[72:73]
	v_add_f64 v[44:45], v[90:91], v[0:1]
	v_add_f64 v[72:73], v[90:91], -v[0:1]
	v_add_f64 v[0:1], v[40:41], v[104:105]
	v_fma_f64 v[84:85], v[116:117], 0.5, v[70:71]
	v_fma_f64 v[122:123], v[128:129], s[16:17], v[68:69]
	v_fma_f64 v[128:129], v[98:99], v[36:37], v[140:141]
	v_add_f64 v[140:141], v[110:111], v[126:127]
	v_add_f64 v[68:69], v[120:121], v[74:75]
	;; [unrolled: 1-line block ×3, first 2 shown]
	v_add_f64 v[88:89], v[120:121], -v[74:75]
	v_fma_f64 v[116:117], v[62:63], s[10:11], v[46:47]
	v_add_f64 v[60:61], v[118:119], v[84:85]
	v_add_f64 v[84:85], v[118:119], -v[84:85]
	v_fma_f64 v[118:119], v[130:131], -0.5, v[100:101]
	v_fma_f64 v[120:121], v[140:141], -0.5, v[102:103]
	v_add_f64 v[130:131], v[108:109], -v[124:125]
	v_add_f64 v[46:47], v[112:113], v[86:87]
	v_add_f64 v[62:63], v[114:115], v[96:97]
	v_fma_f64 v[40:41], v[98:99], -0.5, v[40:41]
	v_add_f64 v[98:99], v[106:107], -v[94:95]
	v_add_f64 v[140:141], v[110:111], -v[126:127]
	v_add_f64 v[74:75], v[112:113], -v[86:87]
	v_add_f64 v[86:87], v[114:115], -v[96:97]
	v_fma_f64 v[114:115], v[130:131], s[16:17], v[120:121]
	v_add_f64 v[70:71], v[116:117], v[122:123]
	v_add_f64 v[90:91], v[116:117], -v[122:123]
	v_add_f64 v[96:97], v[106:107], v[94:95]
	v_fma_f64 v[112:113], v[98:99], s[10:11], v[40:41]
	v_fma_f64 v[116:117], v[140:141], s[16:17], v[118:119]
	;; [unrolled: 1-line block ×3, first 2 shown]
	v_add_f64 v[40:41], v[42:43], v[106:107]
	v_fma_f64 v[98:99], v[140:141], s[10:11], v[118:119]
	v_mul_f64 v[106:107], v[114:115], s[10:11]
	v_add_f64 v[102:103], v[102:103], v[110:111]
	v_add_f64 v[0:1], v[0:1], v[92:93]
	v_fma_f64 v[42:43], v[96:97], -0.5, v[42:43]
	v_add_f64 v[96:97], v[100:101], v[108:109]
	v_fma_f64 v[100:101], v[130:131], s[10:11], v[120:121]
	v_mul_f64 v[108:109], v[116:117], -0.5
	v_add_f64 v[92:93], v[104:105], -v[92:93]
	v_mul_f64 v[104:105], v[98:99], s[16:17]
	v_fma_f64 v[106:107], v[98:99], 0.5, v[106:107]
	v_add_f64 v[102:103], v[102:103], v[126:127]
	v_add_f64 v[126:127], v[4:5], v[134:135]
	;; [unrolled: 1-line block ×6, first 2 shown]
	v_mul_f64 v[94:95], v[100:101], -0.5
	v_fma_f64 v[108:109], v[100:101], s[10:11], v[108:109]
	v_fma_f64 v[120:121], v[92:93], s[16:17], v[42:43]
	v_fma_f64 v[114:115], v[114:115], 0.5, v[104:105]
	v_fma_f64 v[124:125], v[92:93], s[10:11], v[42:43]
	v_add_f64 v[92:93], v[112:113], v[106:107]
	v_add_f64 v[104:105], v[112:113], -v[106:107]
	v_fma_f64 v[112:113], v[126:127], -0.5, v[32:33]
	v_fma_f64 v[126:127], v[130:131], -0.5, v[182:183]
	;; [unrolled: 1-line block ×3, first 2 shown]
	v_add_f64 v[140:141], v[10:11], -v[138:139]
	v_add_f64 v[142:143], v[132:133], -v[128:129]
	v_add_f64 v[40:41], v[0:1], v[118:119]
	v_fma_f64 v[116:117], v[116:117], s[16:17], v[94:95]
	v_add_f64 v[96:97], v[122:123], v[108:109]
	v_add_f64 v[94:95], v[120:121], v[114:115]
	v_add_f64 v[100:101], v[0:1], -v[118:119]
	v_add_f64 v[0:1], v[32:33], v[4:5]
	v_add_f64 v[118:119], v[6:7], -v[136:137]
	v_add_f64 v[32:33], v[122:123], -v[108:109]
	v_add_f64 v[108:109], v[6:7], v[136:137]
	v_add_f64 v[106:107], v[120:121], -v[114:115]
	v_fma_f64 v[120:121], v[142:143], s[16:17], v[126:127]
	v_fma_f64 v[122:123], v[142:143], s[10:11], v[126:127]
	;; [unrolled: 1-line block ×4, first 2 shown]
	v_add_f64 v[42:43], v[110:111], v[102:103]
	v_add_f64 v[102:103], v[110:111], -v[102:103]
	v_add_f64 v[0:1], v[0:1], v[134:135]
	v_fma_f64 v[110:111], v[118:119], s[10:11], v[112:113]
	v_fma_f64 v[108:109], v[108:109], -0.5, v[34:35]
	v_add_f64 v[4:5], v[4:5], -v[134:135]
	v_fma_f64 v[130:131], v[118:119], s[16:17], v[112:113]
	v_mul_f64 v[112:113], v[120:121], -0.5
	v_mul_f64 v[134:135], v[126:127], -0.5
	v_add_f64 v[6:7], v[34:35], v[6:7]
	v_mul_f64 v[34:35], v[114:115], s[10:11]
	v_mul_f64 v[118:119], v[122:123], s[16:17]
	v_add_f64 v[10:11], v[182:183], v[10:11]
	v_add_f64 v[132:133], v[2:3], v[132:133]
	v_fma_f64 v[140:141], v[4:5], s[16:17], v[108:109]
	v_fma_f64 v[108:109], v[4:5], s[10:11], v[108:109]
	;; [unrolled: 1-line block ×4, first 2 shown]
	v_fma_f64 v[122:123], v[122:123], 0.5, v[34:35]
	v_fma_f64 v[142:143], v[114:115], 0.5, v[118:119]
	v_add_f64 v[2:3], v[10:11], v[138:139]
	v_add_f64 v[4:5], v[6:7], v[136:137]
	;; [unrolled: 1-line block ×4, first 2 shown]
	v_add_f64 v[14:15], v[130:131], -v[126:127]
	v_add_f64 v[16:17], v[108:109], -v[134:135]
	;; [unrolled: 1-line block ×3, first 2 shown]
	v_add_f64 v[112:113], v[110:111], v[122:123]
	v_add_f64 v[116:117], v[130:131], v[126:127]
	;; [unrolled: 1-line block ×4, first 2 shown]
	v_add_f64 v[120:121], v[0:1], -v[2:3]
	v_add_f64 v[124:125], v[110:111], -v[122:123]
	v_add_f64 v[122:123], v[4:5], -v[6:7]
	v_add_f64 v[126:127], v[140:141], -v[142:143]
	buffer_store_dword v14, off, s[64:67], 0 offset:16 ; 4-byte Folded Spill
	s_nop 0
	buffer_store_dword v15, off, s[64:67], 0 offset:20 ; 4-byte Folded Spill
	buffer_store_dword v16, off, s[64:67], 0 offset:24 ; 4-byte Folded Spill
	;; [unrolled: 1-line block ×3, first 2 shown]
	s_waitcnt vmcnt(0)
	s_barrier
	ds_write_b128 v8, v[44:47]
	ds_write_b128 v8, v[60:63] offset:272
	ds_write_b128 v8, v[68:71] offset:544
	;; [unrolled: 1-line block ×4, first 2 shown]
	buffer_store_dword v8, off, s[64:67], 0 offset:136 ; 4-byte Folded Spill
	ds_write_b128 v8, v[88:91] offset:1360
	v_mul_u32_u24_e32 v8, 0x66, v12
	v_add_u32_e32 v8, v8, v13
	v_add_lshl_u32 v8, v255, v8, 4
	ds_write_b128 v8, v[40:43]
	ds_write_b128 v8, v[92:95] offset:272
	ds_write_b128 v8, v[96:99] offset:544
	;; [unrolled: 1-line block ×4, first 2 shown]
	buffer_store_dword v8, off, s[64:67], 0 offset:144 ; 4-byte Folded Spill
	ds_write_b128 v8, v[32:35] offset:1360
	s_and_saveexec_b64 s[10:11], s[2:3]
	s_cbranch_execz .LBB0_11
; %bb.10:
	v_add_f64 v[2:3], v[0:1], v[2:3]
	buffer_load_dword v0, off, s[64:67], 0 offset:32 ; 4-byte Folded Reload
	v_add_f64 v[4:5], v[4:5], v[6:7]
	s_waitcnt vmcnt(0)
	v_add_lshl_u32 v0, v255, v0, 4
	ds_write_b128 v0, v[112:115] offset:19856
	ds_write_b128 v0, v[116:119] offset:20128
	;; [unrolled: 1-line block ×5, first 2 shown]
	buffer_load_dword v1, off, s[64:67], 0 offset:16 ; 4-byte Folded Reload
	buffer_load_dword v2, off, s[64:67], 0 offset:20 ; 4-byte Folded Reload
	;; [unrolled: 1-line block ×4, first 2 shown]
	s_waitcnt vmcnt(0)
	ds_write_b128 v0, v[1:4] offset:20944
.LBB0_11:
	s_or_b64 exec, exec, s[10:11]
	buffer_load_dword v8, off, s[64:67], 0  ; 4-byte Folded Reload
	v_mov_b32_e32 v0, s8
	s_movk_i32 s10, 0xc0
	v_mov_b32_e32 v1, s9
	s_waitcnt vmcnt(0) lgkmcnt(0)
	s_barrier
	s_mov_b32 s30, 0x42a4c3d2
	s_mov_b32 s38, 0x66966769
	;; [unrolled: 1-line block ×26, first 2 shown]
	v_mad_u64_u32 v[0:1], s[8:9], v8, s10, v[0:1]
	s_mov_b32 s10, 0x1ea71119
	s_mov_b32 s8, 0xebaa3ed8
	global_load_dwordx4 v[104:107], v[0:1], off offset:1360
	global_load_dwordx4 v[100:103], v[0:1], off offset:1376
	;; [unrolled: 1-line block ×12, first 2 shown]
	ds_read_b128 v[108:111], v214
	ds_read_b128 v[0:3], v214 offset:1632
	ds_read_b128 v[4:7], v214 offset:3264
	;; [unrolled: 1-line block ×12, first 2 shown]
	s_mov_b32 s11, 0x3fe22d96
	s_mov_b32 s9, 0x3fbedb7d
	s_waitcnt vmcnt(11) lgkmcnt(11)
	v_mul_f64 v[10:11], v[2:3], v[106:107]
	s_waitcnt vmcnt(10) lgkmcnt(10)
	v_mul_f64 v[170:171], v[6:7], v[102:103]
	v_mul_f64 v[168:169], v[0:1], v[106:107]
	s_waitcnt vmcnt(8) lgkmcnt(8)
	v_mul_f64 v[178:179], v[134:135], v[18:19]
	;; [unrolled: 3-line block ×3, first 2 shown]
	s_waitcnt vmcnt(5) lgkmcnt(5)
	v_mul_f64 v[190:191], v[146:147], v[22:23]
	s_waitcnt vmcnt(4) lgkmcnt(4)
	v_mul_f64 v[194:195], v[150:151], v[14:15]
	v_mul_f64 v[180:181], v[132:133], v[18:19]
	;; [unrolled: 1-line block ×5, first 2 shown]
	v_fma_f64 v[10:11], v[0:1], v[104:105], -v[10:11]
	v_fma_f64 v[170:171], v[4:5], v[100:101], -v[170:171]
	;; [unrolled: 1-line block ×3, first 2 shown]
	buffer_store_dword v16, off, s[64:67], 0 offset:120 ; 4-byte Folded Spill
	s_nop 0
	buffer_store_dword v17, off, s[64:67], 0 offset:124 ; 4-byte Folded Spill
	buffer_store_dword v18, off, s[64:67], 0 offset:128 ; 4-byte Folded Spill
	buffer_store_dword v19, off, s[64:67], 0 offset:132 ; 4-byte Folded Spill
	v_fma_f64 v[0:1], v[140:141], v[68:69], -v[186:187]
	v_fma_f64 v[4:5], v[144:145], v[20:21], -v[190:191]
	buffer_store_dword v20, off, s[64:67], 0 offset:152 ; 4-byte Folded Spill
	s_nop 0
	buffer_store_dword v21, off, s[64:67], 0 offset:156 ; 4-byte Folded Spill
	buffer_store_dword v22, off, s[64:67], 0 offset:160 ; 4-byte Folded Spill
	;; [unrolled: 1-line block ×3, first 2 shown]
	v_fma_f64 v[140:141], v[148:149], v[12:13], -v[194:195]
	buffer_store_dword v12, off, s[64:67], 0 offset:88 ; 4-byte Folded Spill
	s_nop 0
	buffer_store_dword v13, off, s[64:67], 0 offset:92 ; 4-byte Folded Spill
	buffer_store_dword v14, off, s[64:67], 0 offset:96 ; 4-byte Folded Spill
	;; [unrolled: 1-line block ×3, first 2 shown]
	v_mul_f64 v[174:175], v[130:131], v[62:63]
	v_fma_f64 v[168:169], v[2:3], v[104:105], v[168:169]
	v_add_f64 v[148:149], v[108:109], v[10:11]
	v_mul_f64 v[176:177], v[128:129], v[62:63]
	v_fma_f64 v[172:173], v[6:7], v[100:101], v[172:173]
	v_fma_f64 v[2:3], v[142:143], v[68:69], v[188:189]
	v_mul_f64 v[182:183], v[138:139], v[98:99]
	v_mul_f64 v[184:185], v[136:137], v[98:99]
	v_fma_f64 v[174:175], v[128:129], v[60:61], -v[174:175]
	s_waitcnt vmcnt(15) lgkmcnt(3)
	v_mul_f64 v[198:199], v[154:155], v[94:95]
	v_add_f64 v[148:149], v[148:149], v[170:171]
	v_fma_f64 v[176:177], v[130:131], v[60:61], v[176:177]
	v_mul_f64 v[200:201], v[152:153], v[94:95]
	s_waitcnt vmcnt(14) lgkmcnt(2)
	v_mul_f64 v[202:203], v[158:159], v[86:87]
	v_fma_f64 v[136:137], v[136:137], v[96:97], -v[182:183]
	v_fma_f64 v[138:139], v[138:139], v[96:97], v[184:185]
	s_waitcnt vmcnt(12) lgkmcnt(0)
	v_mul_f64 v[210:211], v[166:167], v[90:91]
	v_mul_f64 v[212:213], v[164:165], v[90:91]
	v_add_f64 v[148:149], v[148:149], v[174:175]
	v_fma_f64 v[144:145], v[152:153], v[92:93], -v[198:199]
	v_mul_f64 v[204:205], v[156:157], v[86:87]
	v_mul_f64 v[206:207], v[162:163], v[74:75]
	v_fma_f64 v[152:153], v[156:157], v[84:85], -v[202:203]
	v_mul_f64 v[208:209], v[160:161], v[74:75]
	v_fma_f64 v[128:129], v[164:165], v[88:89], -v[210:211]
	v_fma_f64 v[130:131], v[166:167], v[88:89], v[212:213]
	v_add_f64 v[148:149], v[148:149], v[132:133]
	v_fma_f64 v[156:157], v[160:161], v[72:73], -v[206:207]
	v_add_f64 v[160:161], v[10:11], v[128:129]
	v_add_f64 v[164:165], v[168:169], -v[130:131]
	v_add_f64 v[148:149], v[148:149], v[136:137]
	v_add_f64 v[10:11], v[10:11], -v[128:129]
	;; [unrolled: 2-line block ×3, first 2 shown]
	v_mul_f64 v[178:179], v[164:165], s[22:23]
	v_add_f64 v[148:149], v[148:149], v[0:1]
	v_mul_f64 v[182:183], v[164:165], s[30:31]
	v_mul_f64 v[184:185], v[10:11], s[30:31]
	;; [unrolled: 1-line block ×7, first 2 shown]
	v_add_f64 v[148:149], v[148:149], v[4:5]
	v_fma_f64 v[202:203], v[160:161], s[18:19], -v[178:179]
	v_fma_f64 v[178:179], v[160:161], s[18:19], v[178:179]
	v_fma_f64 v[206:207], v[160:161], s[10:11], -v[182:183]
	v_fma_f64 v[182:183], v[160:161], s[10:11], v[182:183]
	v_fma_f64 v[210:211], v[160:161], s[8:9], -v[186:187]
	v_fma_f64 v[186:187], v[160:161], s[8:9], v[186:187]
	v_fma_f64 v[215:216], v[160:161], s[16:17], -v[190:191]
	v_add_f64 v[148:149], v[148:149], v[140:141]
	v_fma_f64 v[190:191], v[160:161], s[16:17], v[190:191]
	v_fma_f64 v[219:220], v[160:161], s[24:25], -v[194:195]
	v_fma_f64 v[194:195], v[160:161], s[24:25], v[194:195]
	v_fma_f64 v[223:224], v[160:161], s[28:29], -v[164:165]
	v_add_f64 v[202:203], v[108:109], v[202:203]
	v_add_f64 v[178:179], v[108:109], v[178:179]
	;; [unrolled: 1-line block ×8, first 2 shown]
	v_fma_f64 v[134:135], v[134:135], v[16:17], v[180:181]
	v_mul_f64 v[180:181], v[10:11], s[22:23]
	s_mov_b32 s23, 0x3fddbe06
	v_fma_f64 v[6:7], v[146:147], v[20:21], v[192:193]
	v_fma_f64 v[146:147], v[154:155], v[92:93], v[200:201]
	v_fma_f64 v[142:143], v[150:151], v[12:13], v[196:197]
	v_add_f64 v[150:151], v[110:111], v[168:169]
	v_fma_f64 v[154:155], v[158:159], v[84:85], v[204:205]
	v_add_f64 v[148:149], v[148:149], v[152:153]
	v_fma_f64 v[158:159], v[162:163], v[72:73], v[208:209]
	v_add_f64 v[162:163], v[168:169], v[130:131]
	v_mul_f64 v[192:193], v[10:11], s[20:21]
	v_mul_f64 v[196:197], v[10:11], s[26:27]
	v_mul_f64 v[10:11], v[10:11], s[34:35]
	v_add_f64 v[150:151], v[150:151], v[172:173]
	v_mul_f64 v[200:201], v[170:171], s[30:31]
	v_add_f64 v[148:149], v[148:149], v[156:157]
	v_add_f64 v[168:169], v[172:173], v[158:159]
	v_add_f64 v[172:173], v[172:173], -v[158:159]
	v_fma_f64 v[204:205], v[162:163], s[18:19], v[180:181]
	v_fma_f64 v[180:181], v[162:163], s[18:19], -v[180:181]
	v_fma_f64 v[208:209], v[162:163], s[10:11], v[184:185]
	v_add_f64 v[150:151], v[150:151], v[176:177]
	v_fma_f64 v[184:185], v[162:163], s[10:11], -v[184:185]
	v_fma_f64 v[212:213], v[162:163], s[8:9], v[188:189]
	v_fma_f64 v[188:189], v[162:163], s[8:9], -v[188:189]
	v_fma_f64 v[217:218], v[162:163], s[16:17], v[192:193]
	;; [unrolled: 2-line block ×3, first 2 shown]
	v_fma_f64 v[196:197], v[162:163], s[24:25], -v[196:197]
	v_add_f64 v[150:151], v[150:151], v[134:135]
	v_fma_f64 v[225:226], v[162:163], s[28:29], v[10:11]
	v_add_f64 v[128:129], v[148:149], v[128:129]
	v_fma_f64 v[148:149], v[160:161], s[28:29], v[164:165]
	v_fma_f64 v[10:11], v[162:163], s[28:29], -v[10:11]
	v_mul_f64 v[198:199], v[172:173], s[30:31]
	v_add_f64 v[204:205], v[110:111], v[204:205]
	v_add_f64 v[180:181], v[110:111], v[180:181]
	;; [unrolled: 1-line block ×14, first 2 shown]
	v_fma_f64 v[162:163], v[166:167], s[10:11], -v[198:199]
	v_fma_f64 v[164:165], v[168:169], s[10:11], v[200:201]
	v_fma_f64 v[198:199], v[166:167], s[10:11], v[198:199]
	v_fma_f64 v[200:201], v[168:169], s[10:11], -v[200:201]
	v_add_f64 v[150:151], v[150:151], v[6:7]
	v_add_f64 v[162:163], v[162:163], v[202:203]
	;; [unrolled: 1-line block ×3, first 2 shown]
	v_mul_f64 v[202:203], v[172:173], s[34:35]
	v_mul_f64 v[204:205], v[170:171], s[34:35]
	v_add_f64 v[150:151], v[150:151], v[142:143]
	v_add_f64 v[178:179], v[198:199], v[178:179]
	;; [unrolled: 1-line block ×3, first 2 shown]
	v_fma_f64 v[225:226], v[168:169], s[28:29], v[204:205]
	v_add_f64 v[150:151], v[150:151], v[146:147]
	v_fma_f64 v[204:205], v[168:169], s[28:29], -v[204:205]
	v_add_f64 v[150:151], v[150:151], v[154:155]
	v_add_f64 v[188:189], v[204:205], v[188:189]
	;; [unrolled: 1-line block ×5, first 2 shown]
	v_mul_f64 v[110:111], v[172:173], s[20:21]
	v_add_f64 v[130:131], v[150:151], v[130:131]
	v_add_f64 v[150:151], v[108:109], v[194:195]
	v_add_f64 v[194:195], v[108:109], v[223:224]
	v_add_f64 v[108:109], v[108:109], v[148:149]
	v_mul_f64 v[148:149], v[170:171], s[20:21]
	v_fma_f64 v[219:220], v[166:167], s[16:17], -v[110:111]
	v_fma_f64 v[110:111], v[166:167], s[16:17], v[110:111]
	v_fma_f64 v[223:224], v[166:167], s[28:29], -v[202:203]
	v_fma_f64 v[202:203], v[166:167], s[28:29], v[202:203]
	v_fma_f64 v[221:222], v[168:169], s[16:17], v[148:149]
	v_add_f64 v[198:199], v[219:220], v[206:207]
	v_mul_f64 v[206:207], v[172:173], s[40:41]
	v_fma_f64 v[148:149], v[168:169], s[16:17], -v[148:149]
	v_add_f64 v[110:111], v[110:111], v[182:183]
	v_add_f64 v[182:183], v[223:224], v[210:211]
	v_mul_f64 v[210:211], v[172:173], s[36:37]
	v_add_f64 v[186:187], v[202:203], v[186:187]
	v_add_f64 v[200:201], v[221:222], v[208:209]
	v_mul_f64 v[208:209], v[170:171], s[40:41]
	v_fma_f64 v[219:220], v[166:167], s[24:25], -v[206:207]
	v_fma_f64 v[206:207], v[166:167], s[24:25], v[206:207]
	v_add_f64 v[148:149], v[148:149], v[184:185]
	v_add_f64 v[184:185], v[225:226], v[212:213]
	v_mul_f64 v[212:213], v[170:171], s[36:37]
	v_fma_f64 v[223:224], v[166:167], s[8:9], -v[210:211]
	v_mul_f64 v[172:173], v[172:173], s[22:23]
	v_fma_f64 v[221:222], v[168:169], s[24:25], v[208:209]
	v_fma_f64 v[208:209], v[168:169], s[24:25], -v[208:209]
	v_add_f64 v[190:191], v[206:207], v[190:191]
	v_add_f64 v[206:207], v[176:177], -v[154:155]
	v_mul_f64 v[170:171], v[170:171], s[22:23]
	v_fma_f64 v[202:203], v[168:169], s[8:9], v[212:213]
	v_add_f64 v[154:155], v[176:177], v[154:155]
	v_add_f64 v[204:205], v[223:224], v[215:216]
	v_fma_f64 v[210:211], v[166:167], s[8:9], v[210:211]
	v_add_f64 v[192:193], v[208:209], v[192:193]
	v_add_f64 v[208:209], v[174:175], -v[152:153]
	v_add_f64 v[152:153], v[174:175], v[152:153]
	v_mul_f64 v[174:175], v[206:207], s[38:39]
	v_add_f64 v[202:203], v[202:203], v[217:218]
	v_fma_f64 v[212:213], v[168:169], s[8:9], -v[212:213]
	v_fma_f64 v[215:216], v[166:167], s[18:19], -v[172:173]
	v_fma_f64 v[217:218], v[168:169], s[18:19], v[170:171]
	v_fma_f64 v[166:167], v[166:167], s[18:19], v[172:173]
	v_mul_f64 v[176:177], v[208:209], s[38:39]
	v_fma_f64 v[168:169], v[168:169], s[18:19], -v[170:171]
	v_fma_f64 v[170:171], v[152:153], s[8:9], -v[174:175]
	v_add_f64 v[150:151], v[210:211], v[150:151]
	v_add_f64 v[160:161], v[212:213], v[160:161]
	;; [unrolled: 1-line block ×5, first 2 shown]
	v_fma_f64 v[172:173], v[154:155], s[8:9], v[176:177]
	v_add_f64 v[10:11], v[168:169], v[10:11]
	v_add_f64 v[162:163], v[170:171], v[162:163]
	v_fma_f64 v[170:171], v[152:153], s[8:9], v[174:175]
	v_mul_f64 v[174:175], v[206:207], s[42:43]
	v_mul_f64 v[166:167], v[206:207], s[34:35]
	;; [unrolled: 1-line block ×3, first 2 shown]
	v_add_f64 v[156:157], v[219:220], v[156:157]
	v_add_f64 v[164:165], v[172:173], v[164:165]
	v_fma_f64 v[172:173], v[154:155], s[8:9], -v[176:177]
	v_mul_f64 v[176:177], v[208:209], s[42:43]
	v_add_f64 v[170:171], v[170:171], v[178:179]
	v_fma_f64 v[178:179], v[152:153], s[16:17], -v[174:175]
	v_fma_f64 v[210:211], v[152:153], s[28:29], -v[166:167]
	v_fma_f64 v[212:213], v[154:155], s[28:29], v[168:169]
	v_fma_f64 v[166:167], v[152:153], s[28:29], v[166:167]
	v_fma_f64 v[168:169], v[154:155], s[28:29], -v[168:169]
	v_add_f64 v[172:173], v[172:173], v[180:181]
	v_fma_f64 v[180:181], v[154:155], s[16:17], v[176:177]
	v_fma_f64 v[174:175], v[152:153], s[16:17], v[174:175]
	v_add_f64 v[178:179], v[178:179], v[182:183]
	v_fma_f64 v[176:177], v[154:155], s[16:17], -v[176:177]
	v_mul_f64 v[182:183], v[206:207], s[30:31]
	v_add_f64 v[110:111], v[166:167], v[110:111]
	v_add_f64 v[148:149], v[168:169], v[148:149]
	v_mul_f64 v[166:167], v[206:207], s[22:23]
	v_add_f64 v[180:181], v[180:181], v[184:185]
	v_mul_f64 v[184:185], v[208:209], s[30:31]
	v_mul_f64 v[168:169], v[208:209], s[22:23]
	v_add_f64 v[174:175], v[174:175], v[186:187]
	v_add_f64 v[176:177], v[176:177], v[188:189]
	v_fma_f64 v[186:187], v[152:153], s[10:11], -v[182:183]
	v_add_f64 v[198:199], v[210:211], v[198:199]
	v_add_f64 v[200:201], v[212:213], v[200:201]
	v_fma_f64 v[210:211], v[152:153], s[18:19], -v[166:167]
	v_fma_f64 v[188:189], v[154:155], s[10:11], v[184:185]
	v_fma_f64 v[212:213], v[154:155], s[18:19], v[168:169]
	;; [unrolled: 1-line block ×3, first 2 shown]
	v_fma_f64 v[168:169], v[154:155], s[18:19], -v[168:169]
	v_add_f64 v[186:187], v[186:187], v[204:205]
	v_add_f64 v[204:205], v[132:133], -v[144:145]
	v_add_f64 v[132:133], v[132:133], v[144:145]
	v_fma_f64 v[182:183], v[152:153], s[10:11], v[182:183]
	v_add_f64 v[188:189], v[188:189], v[202:203]
	v_add_f64 v[202:203], v[134:135], -v[146:147]
	v_add_f64 v[166:167], v[166:167], v[190:191]
	v_add_f64 v[168:169], v[168:169], v[192:193]
	v_mul_f64 v[190:191], v[206:207], s[26:27]
	v_mul_f64 v[192:193], v[208:209], s[26:27]
	v_add_f64 v[134:135], v[134:135], v[146:147]
	v_mul_f64 v[146:147], v[204:205], s[20:21]
	v_fma_f64 v[184:185], v[154:155], s[10:11], -v[184:185]
	v_mul_f64 v[144:145], v[202:203], s[20:21]
	v_add_f64 v[150:151], v[182:183], v[150:151]
	v_add_f64 v[158:159], v[221:222], v[158:159]
	v_fma_f64 v[206:207], v[152:153], s[24:25], -v[190:191]
	v_fma_f64 v[208:209], v[154:155], s[24:25], v[192:193]
	v_fma_f64 v[152:153], v[152:153], s[24:25], v[190:191]
	v_fma_f64 v[154:155], v[154:155], s[24:25], -v[192:193]
	v_fma_f64 v[192:193], v[134:135], s[16:17], v[146:147]
	v_fma_f64 v[190:191], v[132:133], s[16:17], -v[144:145]
	;; [unrolled: 2-line block ×3, first 2 shown]
	v_add_f64 v[160:161], v[184:185], v[160:161]
	v_add_f64 v[182:183], v[206:207], v[194:195]
	;; [unrolled: 1-line block ×4, first 2 shown]
	v_mul_f64 v[152:153], v[202:203], s[40:41]
	v_mul_f64 v[154:155], v[204:205], s[40:41]
	v_add_f64 v[162:163], v[190:191], v[162:163]
	v_add_f64 v[164:165], v[192:193], v[164:165]
	v_mul_f64 v[190:191], v[202:203], s[22:23]
	v_mul_f64 v[192:193], v[204:205], s[22:23]
	v_add_f64 v[184:185], v[208:209], v[196:197]
	v_add_f64 v[144:145], v[144:145], v[170:171]
	v_fma_f64 v[194:195], v[132:133], s[24:25], -v[152:153]
	v_fma_f64 v[196:197], v[134:135], s[24:25], v[154:155]
	v_add_f64 v[146:147], v[146:147], v[172:173]
	v_fma_f64 v[152:153], v[132:133], s[24:25], v[152:153]
	v_fma_f64 v[154:155], v[134:135], s[24:25], -v[154:155]
	v_fma_f64 v[170:171], v[132:133], s[18:19], -v[190:191]
	v_fma_f64 v[172:173], v[134:135], s[18:19], v[192:193]
	s_mov_b32 s41, 0x3fcea1e5
	s_mov_b32 s40, s34
	v_add_f64 v[194:195], v[194:195], v[198:199]
	v_add_f64 v[196:197], v[196:197], v[200:201]
	v_mul_f64 v[198:199], v[202:203], s[38:39]
	v_mul_f64 v[200:201], v[204:205], s[38:39]
	v_add_f64 v[110:111], v[152:153], v[110:111]
	v_add_f64 v[148:149], v[154:155], v[148:149]
	;; [unrolled: 1-line block ×4, first 2 shown]
	v_fma_f64 v[170:171], v[132:133], s[18:19], v[190:191]
	v_fma_f64 v[172:173], v[134:135], s[18:19], -v[192:193]
	v_mul_f64 v[190:191], v[202:203], s[40:41]
	v_mul_f64 v[192:193], v[204:205], s[40:41]
	v_add_f64 v[156:157], v[210:211], v[156:157]
	v_add_f64 v[158:159], v[212:213], v[158:159]
	v_fma_f64 v[178:179], v[132:133], s[8:9], -v[198:199]
	v_fma_f64 v[180:181], v[134:135], s[8:9], v[200:201]
	v_add_f64 v[170:171], v[170:171], v[174:175]
	v_add_f64 v[172:173], v[172:173], v[176:177]
	v_fma_f64 v[174:175], v[132:133], s[28:29], -v[190:191]
	v_fma_f64 v[176:177], v[134:135], s[28:29], v[192:193]
	s_mov_b32 s39, 0x3fea55e2
	s_mov_b32 s38, s30
	v_fma_f64 v[198:199], v[132:133], s[8:9], v[198:199]
	v_fma_f64 v[200:201], v[134:135], s[8:9], -v[200:201]
	v_add_f64 v[156:157], v[178:179], v[156:157]
	v_add_f64 v[158:159], v[180:181], v[158:159]
	v_mul_f64 v[178:179], v[202:203], s[38:39]
	v_mul_f64 v[180:181], v[204:205], s[38:39]
	v_add_f64 v[174:175], v[174:175], v[186:187]
	v_add_f64 v[176:177], v[176:177], v[188:189]
	v_add_f64 v[186:187], v[138:139], -v[142:143]
	v_add_f64 v[188:189], v[136:137], -v[140:141]
	v_add_f64 v[166:167], v[198:199], v[166:167]
	v_add_f64 v[168:169], v[200:201], v[168:169]
	v_fma_f64 v[190:191], v[132:133], s[28:29], v[190:191]
	v_fma_f64 v[192:193], v[134:135], s[28:29], -v[192:193]
	v_fma_f64 v[198:199], v[132:133], s[10:11], -v[178:179]
	v_fma_f64 v[200:201], v[134:135], s[10:11], v[180:181]
	v_add_f64 v[136:137], v[136:137], v[140:141]
	v_add_f64 v[138:139], v[138:139], v[142:143]
	v_mul_f64 v[140:141], v[186:187], s[26:27]
	v_mul_f64 v[142:143], v[188:189], s[26:27]
	v_fma_f64 v[132:133], v[132:133], s[10:11], v[178:179]
	v_fma_f64 v[134:135], v[134:135], s[10:11], -v[180:181]
	v_add_f64 v[178:179], v[198:199], v[182:183]
	v_add_f64 v[180:181], v[200:201], v[184:185]
	;; [unrolled: 1-line block ×4, first 2 shown]
	v_fma_f64 v[182:183], v[136:137], s[24:25], -v[140:141]
	v_fma_f64 v[184:185], v[138:139], s[24:25], v[142:143]
	v_add_f64 v[108:109], v[132:133], v[108:109]
	v_add_f64 v[10:11], v[134:135], v[10:11]
	v_mul_f64 v[132:133], v[186:187], s[36:37]
	v_mul_f64 v[134:135], v[188:189], s[36:37]
	v_fma_f64 v[140:141], v[136:137], s[24:25], v[140:141]
	v_fma_f64 v[142:143], v[138:139], s[24:25], -v[142:143]
	v_add_f64 v[162:163], v[182:183], v[162:163]
	v_add_f64 v[164:165], v[184:185], v[164:165]
	v_mul_f64 v[182:183], v[186:187], s[30:31]
	v_mul_f64 v[184:185], v[188:189], s[30:31]
	v_fma_f64 v[190:191], v[136:137], s[8:9], -v[132:133]
	v_fma_f64 v[192:193], v[138:139], s[8:9], v[134:135]
	v_fma_f64 v[132:133], v[136:137], s[8:9], v[132:133]
	v_fma_f64 v[134:135], v[138:139], s[8:9], -v[134:135]
	v_add_f64 v[140:141], v[140:141], v[144:145]
	v_add_f64 v[142:143], v[142:143], v[146:147]
	v_fma_f64 v[144:145], v[136:137], s[10:11], -v[182:183]
	v_fma_f64 v[146:147], v[138:139], s[10:11], v[184:185]
	v_add_f64 v[190:191], v[190:191], v[194:195]
	v_add_f64 v[192:193], v[192:193], v[196:197]
	v_mul_f64 v[194:195], v[186:187], s[40:41]
	v_mul_f64 v[196:197], v[188:189], s[40:41]
	v_add_f64 v[110:111], v[132:133], v[110:111]
	v_add_f64 v[148:149], v[134:135], v[148:149]
	v_fma_f64 v[132:133], v[136:137], s[10:11], v[182:183]
	v_fma_f64 v[134:135], v[138:139], s[10:11], -v[184:185]
	v_mul_f64 v[182:183], v[186:187], s[22:23]
	v_mul_f64 v[184:185], v[188:189], s[22:23]
	v_add_f64 v[144:145], v[144:145], v[152:153]
	v_add_f64 v[146:147], v[146:147], v[154:155]
	v_fma_f64 v[152:153], v[136:137], s[28:29], -v[194:195]
	v_fma_f64 v[154:155], v[138:139], s[28:29], v[196:197]
	v_fma_f64 v[194:195], v[136:137], s[28:29], v[194:195]
	v_fma_f64 v[196:197], v[138:139], s[28:29], -v[196:197]
	v_add_f64 v[198:199], v[132:133], v[170:171]
	v_add_f64 v[200:201], v[134:135], v[172:173]
	v_fma_f64 v[132:133], v[136:137], s[18:19], -v[182:183]
	v_fma_f64 v[134:135], v[138:139], s[18:19], v[184:185]
	v_mul_f64 v[170:171], v[186:187], s[20:21]
	v_mul_f64 v[172:173], v[188:189], s[20:21]
	v_add_f64 v[186:187], v[2:3], -v[6:7]
	v_add_f64 v[188:189], v[0:1], -v[4:5]
	v_add_f64 v[152:153], v[152:153], v[156:157]
	v_add_f64 v[154:155], v[154:155], v[158:159]
	;; [unrolled: 1-line block ×4, first 2 shown]
	v_fma_f64 v[166:167], v[136:137], s[18:19], v[182:183]
	v_fma_f64 v[168:169], v[138:139], s[18:19], -v[184:185]
	v_add_f64 v[182:183], v[132:133], v[174:175]
	v_add_f64 v[184:185], v[134:135], v[176:177]
	v_fma_f64 v[132:133], v[136:137], s[16:17], -v[170:171]
	v_fma_f64 v[134:135], v[138:139], s[16:17], v[172:173]
	v_add_f64 v[0:1], v[0:1], v[4:5]
	v_add_f64 v[2:3], v[2:3], v[6:7]
	v_mul_f64 v[4:5], v[186:187], s[34:35]
	v_mul_f64 v[6:7], v[188:189], s[34:35]
	v_add_f64 v[194:195], v[168:169], v[160:161]
	v_fma_f64 v[136:137], v[136:137], s[16:17], v[170:171]
	v_add_f64 v[196:197], v[132:133], v[178:179]
	v_add_f64 v[180:181], v[134:135], v[180:181]
	v_mul_f64 v[160:161], v[186:187], s[22:23]
	v_add_f64 v[150:151], v[166:167], v[150:151]
	v_fma_f64 v[132:133], v[0:1], s[28:29], -v[4:5]
	v_fma_f64 v[134:135], v[2:3], s[28:29], v[6:7]
	v_fma_f64 v[4:5], v[0:1], s[28:29], v[4:5]
	v_fma_f64 v[138:139], v[138:139], s[16:17], -v[172:173]
	v_mul_f64 v[166:167], v[188:189], s[22:23]
	v_add_f64 v[108:109], v[136:137], v[108:109]
	v_fma_f64 v[6:7], v[2:3], s[28:29], -v[6:7]
	v_fma_f64 v[136:137], v[0:1], s[18:19], -v[160:161]
	v_add_f64 v[172:173], v[132:133], v[162:163]
	v_add_f64 v[174:175], v[134:135], v[164:165]
	v_mul_f64 v[164:165], v[188:189], s[26:27]
	v_add_f64 v[132:133], v[4:5], v[140:141]
	v_fma_f64 v[4:5], v[0:1], s[18:19], v[160:161]
	v_mul_f64 v[160:161], v[186:187], s[38:39]
	v_add_f64 v[10:11], v[138:139], v[10:11]
	v_fma_f64 v[138:139], v[2:3], s[18:19], v[166:167]
	v_mul_f64 v[162:163], v[186:187], s[26:27]
	v_add_f64 v[134:135], v[6:7], v[142:143]
	v_add_f64 v[176:177], v[136:137], v[190:191]
	v_fma_f64 v[6:7], v[2:3], s[18:19], -v[166:167]
	v_fma_f64 v[142:143], v[2:3], s[24:25], v[164:165]
	v_fma_f64 v[164:165], v[2:3], s[24:25], -v[164:165]
	v_add_f64 v[136:137], v[4:5], v[110:111]
	v_fma_f64 v[4:5], v[0:1], s[10:11], -v[160:161]
	v_add_f64 v[178:179], v[138:139], v[192:193]
	v_fma_f64 v[140:141], v[0:1], s[24:25], -v[162:163]
	v_fma_f64 v[110:111], v[0:1], s[10:11], v[160:161]
	v_add_f64 v[138:139], v[6:7], v[148:149]
	v_add_f64 v[170:171], v[142:143], v[146:147]
	;; [unrolled: 1-line block ×3, first 2 shown]
	v_mul_f64 v[148:149], v[186:187], s[20:21]
	v_mul_f64 v[160:161], v[188:189], s[20:21]
	v_add_f64 v[164:165], v[4:5], v[152:153]
	v_mul_f64 v[4:5], v[186:187], s[36:37]
	v_fma_f64 v[162:163], v[0:1], s[24:25], v[162:163]
	v_add_f64 v[168:169], v[140:141], v[144:145]
	v_add_f64 v[144:145], v[110:111], v[156:157]
	v_mul_f64 v[166:167], v[188:189], s[38:39]
	v_fma_f64 v[110:111], v[0:1], s[16:17], -v[148:149]
	v_fma_f64 v[152:153], v[2:3], s[16:17], v[160:161]
	v_fma_f64 v[148:149], v[0:1], s[16:17], v[148:149]
	v_fma_f64 v[156:157], v[0:1], s[8:9], -v[4:5]
	v_fma_f64 v[0:1], v[0:1], s[8:9], v[4:5]
	v_add_f64 v[140:141], v[162:163], v[198:199]
	v_fma_f64 v[6:7], v[2:3], s[10:11], v[166:167]
	v_fma_f64 v[146:147], v[2:3], s[10:11], -v[166:167]
	v_add_f64 v[162:163], v[152:153], v[184:185]
	v_add_f64 v[148:149], v[148:149], v[150:151]
	;; [unrolled: 1-line block ×4, first 2 shown]
	buffer_load_dword v0, off, s[64:67], 0 offset:12 ; 4-byte Folded Reload
	v_add_f64 v[166:167], v[6:7], v[154:155]
	v_mul_f64 v[6:7], v[188:189], s[36:37]
	v_add_f64 v[146:147], v[146:147], v[158:159]
	v_fma_f64 v[154:155], v[2:3], s[16:17], -v[160:161]
	v_add_f64 v[160:161], v[110:111], v[182:183]
	v_fma_f64 v[158:159], v[2:3], s[8:9], v[6:7]
	v_fma_f64 v[2:3], v[2:3], s[8:9], -v[6:7]
	v_add_f64 v[150:151], v[154:155], v[194:195]
	v_add_f64 v[158:159], v[158:159], v[180:181]
	;; [unrolled: 1-line block ×3, first 2 shown]
	s_waitcnt vmcnt(0)
	v_lshl_add_u32 v255, v8, 4, v0
	ds_write_b128 v255, v[128:131]
	ds_write_b128 v255, v[172:175] offset:1632
	ds_write_b128 v255, v[176:179] offset:3264
	;; [unrolled: 1-line block ×12, first 2 shown]
	s_waitcnt lgkmcnt(0)
	s_barrier
	s_and_saveexec_b64 s[8:9], s[0:1]
	s_cbranch_execz .LBB0_13
; %bb.12:
	buffer_load_dword v0, off, s[64:67], 0  ; 4-byte Folded Reload
	v_mov_b32_e32 v1, s13
	ds_read_b128 v[2:5], v255
	s_movk_i32 s10, 0x6000
	s_waitcnt vmcnt(0)
	v_lshlrev_b32_e32 v0, 4, v0
	v_add_co_u32_e32 v0, vcc, s12, v0
	v_addc_co_u32_e32 v1, vcc, 0, v1, vcc
	v_add_co_u32_e32 v6, vcc, 0x52e0, v0
	v_addc_co_u32_e32 v7, vcc, 0, v1, vcc
	;; [unrolled: 2-line block ×3, first 2 shown]
	global_load_dwordx4 v[108:111], v[10:11], off offset:736
	s_waitcnt vmcnt(0) lgkmcnt(0)
	v_mul_f64 v[10:11], v[4:5], v[110:111]
	v_fma_f64 v[180:181], v[2:3], v[108:109], -v[10:11]
	v_mul_f64 v[2:3], v[2:3], v[110:111]
	v_fma_f64 v[182:183], v[4:5], v[108:109], v[2:3]
	global_load_dwordx4 v[108:111], v[6:7], off offset:1248
	ds_read_b128 v[2:5], v255 offset:1248
	ds_write_b128 v255, v[180:183]
	s_waitcnt vmcnt(0) lgkmcnt(1)
	v_mul_f64 v[10:11], v[4:5], v[110:111]
	v_fma_f64 v[180:181], v[2:3], v[108:109], -v[10:11]
	v_mul_f64 v[2:3], v[2:3], v[110:111]
	v_fma_f64 v[182:183], v[4:5], v[108:109], v[2:3]
	global_load_dwordx4 v[108:111], v[6:7], off offset:2496
	ds_read_b128 v[2:5], v255 offset:2496
	ds_write_b128 v255, v[180:183] offset:1248
	s_waitcnt vmcnt(0) lgkmcnt(1)
	v_mul_f64 v[10:11], v[4:5], v[110:111]
	v_fma_f64 v[180:181], v[2:3], v[108:109], -v[10:11]
	v_mul_f64 v[2:3], v[2:3], v[110:111]
	v_fma_f64 v[182:183], v[4:5], v[108:109], v[2:3]
	global_load_dwordx4 v[108:111], v[6:7], off offset:3744
	ds_read_b128 v[2:5], v255 offset:3744
	ds_write_b128 v255, v[180:183] offset:2496
	s_waitcnt vmcnt(0) lgkmcnt(1)
	v_mul_f64 v[6:7], v[4:5], v[110:111]
	v_fma_f64 v[180:181], v[2:3], v[108:109], -v[6:7]
	v_mul_f64 v[2:3], v[2:3], v[110:111]
	v_add_co_u32_e32 v6, vcc, s10, v0
	v_addc_co_u32_e32 v7, vcc, 0, v1, vcc
	s_movk_i32 s10, 0x7000
	v_fma_f64 v[182:183], v[4:5], v[108:109], v[2:3]
	global_load_dwordx4 v[108:111], v[6:7], off offset:1632
	ds_read_b128 v[2:5], v255 offset:4992
	ds_write_b128 v255, v[180:183] offset:3744
	s_waitcnt vmcnt(0) lgkmcnt(1)
	v_mul_f64 v[10:11], v[4:5], v[110:111]
	v_fma_f64 v[180:181], v[2:3], v[108:109], -v[10:11]
	v_mul_f64 v[2:3], v[2:3], v[110:111]
	v_fma_f64 v[182:183], v[4:5], v[108:109], v[2:3]
	global_load_dwordx4 v[108:111], v[6:7], off offset:2880
	ds_read_b128 v[2:5], v255 offset:6240
	ds_write_b128 v255, v[180:183] offset:4992
	s_waitcnt vmcnt(0) lgkmcnt(1)
	v_mul_f64 v[6:7], v[4:5], v[110:111]
	v_fma_f64 v[180:181], v[2:3], v[108:109], -v[6:7]
	v_mul_f64 v[2:3], v[2:3], v[110:111]
	v_add_co_u32_e32 v6, vcc, s10, v0
	v_addc_co_u32_e32 v7, vcc, 0, v1, vcc
	s_mov_b32 s10, 0x8000
	v_fma_f64 v[182:183], v[4:5], v[108:109], v[2:3]
	global_load_dwordx4 v[108:111], v[6:7], off offset:32
	ds_read_b128 v[2:5], v255 offset:7488
	ds_write_b128 v255, v[180:183] offset:6240
	s_waitcnt vmcnt(0) lgkmcnt(1)
	v_mul_f64 v[10:11], v[4:5], v[110:111]
	v_fma_f64 v[180:181], v[2:3], v[108:109], -v[10:11]
	v_mul_f64 v[2:3], v[2:3], v[110:111]
	v_fma_f64 v[182:183], v[4:5], v[108:109], v[2:3]
	global_load_dwordx4 v[108:111], v[6:7], off offset:1280
	ds_read_b128 v[2:5], v255 offset:8736
	ds_write_b128 v255, v[180:183] offset:7488
	s_waitcnt vmcnt(0) lgkmcnt(1)
	v_mul_f64 v[10:11], v[4:5], v[110:111]
	v_fma_f64 v[180:181], v[2:3], v[108:109], -v[10:11]
	v_mul_f64 v[2:3], v[2:3], v[110:111]
	;; [unrolled: 8-line block ×4, first 2 shown]
	v_add_co_u32_e32 v6, vcc, s10, v0
	v_addc_co_u32_e32 v7, vcc, 0, v1, vcc
	s_mov_b32 s10, 0x9000
	v_fma_f64 v[182:183], v[4:5], v[108:109], v[2:3]
	global_load_dwordx4 v[108:111], v[6:7], off offset:928
	ds_read_b128 v[2:5], v255 offset:12480
	ds_write_b128 v255, v[180:183] offset:11232
	s_waitcnt vmcnt(0) lgkmcnt(1)
	v_mul_f64 v[10:11], v[4:5], v[110:111]
	v_fma_f64 v[180:181], v[2:3], v[108:109], -v[10:11]
	v_mul_f64 v[2:3], v[2:3], v[110:111]
	v_fma_f64 v[182:183], v[4:5], v[108:109], v[2:3]
	global_load_dwordx4 v[108:111], v[6:7], off offset:2176
	ds_read_b128 v[2:5], v255 offset:13728
	ds_write_b128 v255, v[180:183] offset:12480
	s_waitcnt vmcnt(0) lgkmcnt(1)
	v_mul_f64 v[10:11], v[4:5], v[110:111]
	v_fma_f64 v[180:181], v[2:3], v[108:109], -v[10:11]
	v_mul_f64 v[2:3], v[2:3], v[110:111]
	;; [unrolled: 8-line block ×3, first 2 shown]
	v_add_co_u32_e32 v6, vcc, s10, v0
	v_addc_co_u32_e32 v7, vcc, 0, v1, vcc
	s_mov_b32 s10, 0xa000
	v_add_co_u32_e32 v0, vcc, s10, v0
	v_fma_f64 v[182:183], v[4:5], v[108:109], v[2:3]
	global_load_dwordx4 v[108:111], v[6:7], off offset:576
	ds_read_b128 v[2:5], v255 offset:16224
	v_addc_co_u32_e32 v1, vcc, 0, v1, vcc
	ds_write_b128 v255, v[180:183] offset:14976
	s_waitcnt vmcnt(0) lgkmcnt(1)
	v_mul_f64 v[10:11], v[4:5], v[110:111]
	v_fma_f64 v[180:181], v[2:3], v[108:109], -v[10:11]
	v_mul_f64 v[2:3], v[2:3], v[110:111]
	v_fma_f64 v[182:183], v[4:5], v[108:109], v[2:3]
	global_load_dwordx4 v[108:111], v[6:7], off offset:1824
	ds_read_b128 v[2:5], v255 offset:17472
	ds_write_b128 v255, v[180:183] offset:16224
	s_waitcnt vmcnt(0) lgkmcnt(1)
	v_mul_f64 v[10:11], v[4:5], v[110:111]
	v_fma_f64 v[180:181], v[2:3], v[108:109], -v[10:11]
	v_mul_f64 v[2:3], v[2:3], v[110:111]
	v_fma_f64 v[182:183], v[4:5], v[108:109], v[2:3]
	global_load_dwordx4 v[108:111], v[6:7], off offset:3072
	ds_read_b128 v[2:5], v255 offset:18720
	ds_write_b128 v255, v[180:183] offset:17472
	s_waitcnt vmcnt(0) lgkmcnt(1)
	v_mul_f64 v[6:7], v[4:5], v[110:111]
	v_fma_f64 v[180:181], v[2:3], v[108:109], -v[6:7]
	v_mul_f64 v[2:3], v[2:3], v[110:111]
	v_fma_f64 v[182:183], v[4:5], v[108:109], v[2:3]
	global_load_dwordx4 v[108:111], v[0:1], off offset:224
	ds_read_b128 v[2:5], v255 offset:19968
	ds_write_b128 v255, v[180:183] offset:18720
	s_waitcnt vmcnt(0) lgkmcnt(1)
	v_mul_f64 v[0:1], v[4:5], v[110:111]
	v_fma_f64 v[0:1], v[2:3], v[108:109], -v[0:1]
	v_mul_f64 v[2:3], v[2:3], v[110:111]
	v_fma_f64 v[2:3], v[4:5], v[108:109], v[2:3]
	ds_write_b128 v255, v[0:3] offset:19968
.LBB0_13:
	s_or_b64 exec, exec, s[8:9]
	s_waitcnt lgkmcnt(0)
	s_barrier
	s_and_saveexec_b64 s[8:9], s[0:1]
	s_cbranch_execz .LBB0_15
; %bb.14:
	ds_read_b128 v[128:131], v255
	ds_read_b128 v[172:175], v255 offset:1248
	ds_read_b128 v[176:179], v255 offset:2496
	;; [unrolled: 1-line block ×16, first 2 shown]
.LBB0_15:
	s_or_b64 exec, exec, s[8:9]
	s_waitcnt lgkmcnt(0)
	v_add_f64 v[223:224], v[174:175], -v[126:127]
	v_add_f64 v[202:203], v[178:179], v[122:123]
	s_mov_b32 s18, 0x5d8e7cdc
	s_mov_b32 s34, 0x6ed5f1bb
	;; [unrolled: 1-line block ×4, first 2 shown]
	v_add_f64 v[239:240], v[176:177], -v[120:121]
	v_add_f64 v[204:205], v[170:171], v[118:119]
	v_mul_f64 v[0:1], v[223:224], s[18:19]
	v_mul_f64 v[12:13], v[202:203], s[34:35]
	s_mov_b32 s30, 0x6c9a05f6
	s_mov_b32 s31, 0xbfe9895b
	v_add_f64 v[215:216], v[172:173], v[124:125]
	v_add_f64 v[200:201], v[178:179], -v[122:123]
	s_mov_b32 s8, 0x370991
	s_mov_b32 s22, 0x2a9d6da3
	buffer_store_dword v0, off, s[64:67], 0 offset:520 ; 4-byte Folded Spill
	s_nop 0
	buffer_store_dword v1, off, s[64:67], 0 offset:524 ; 4-byte Folded Spill
	buffer_store_dword v12, off, s[64:67], 0 offset:256 ; 4-byte Folded Spill
	s_nop 0
	buffer_store_dword v13, off, s[64:67], 0 offset:260 ; 4-byte Folded Spill
	s_mov_b32 s24, 0x7c9e640b
	s_mov_b32 s9, 0x3fedd6d0
	;; [unrolled: 1-line block ×4, first 2 shown]
	v_mul_f64 v[28:29], v[223:224], s[24:25]
	v_add_f64 v[235:236], v[176:177], v[120:121]
	v_mul_f64 v[22:23], v[200:201], s[22:23]
	v_add_f64 v[206:207], v[170:171], -v[118:119]
	s_mov_b32 s10, 0x75d4884
	s_mov_b32 s16, 0x2b2883cd
	;; [unrolled: 1-line block ×4, first 2 shown]
	v_fma_f64 v[10:11], v[215:216], s[16:17], -v[28:29]
	v_mul_f64 v[40:41], v[200:201], s[30:31]
	v_fma_f64 v[110:111], v[235:236], s[10:11], -v[22:23]
	v_add_f64 v[208:209], v[168:169], v[116:117]
	v_mul_f64 v[34:35], v[206:207], s[24:25]
	v_add_f64 v[210:211], v[168:169], -v[116:117]
	v_add_f64 v[251:252], v[166:167], -v[114:115]
	s_mov_b32 s28, 0xeb564b22
	v_add_f64 v[10:11], v[128:129], v[10:11]
	v_fma_f64 v[186:187], v[235:236], s[34:35], -v[40:41]
	s_mov_b32 s42, 0x7faef3
	s_mov_b32 s40, 0xacd6c6b4
	;; [unrolled: 1-line block ×7, first 2 shown]
	v_add_f64 v[10:11], v[186:187], v[10:11]
	v_mul_f64 v[14:15], v[206:207], s[48:49]
	v_mul_f64 v[186:187], v[204:205], s[42:43]
	v_add_f64 v[241:242], v[174:175], v[126:127]
	v_add_f64 v[217:218], v[172:173], -v[124:125]
	s_mov_b32 s20, 0x3259b75e
	s_mov_b32 s21, 0x3fb79ee6
	v_mul_f64 v[32:33], v[202:203], s[20:21]
	v_add_f64 v[227:228], v[164:165], v[112:113]
	v_add_f64 v[225:226], v[166:167], v[114:115]
	v_mul_f64 v[18:19], v[223:224], s[22:23]
	v_mul_f64 v[20:21], v[241:242], s[10:11]
	;; [unrolled: 1-line block ×5, first 2 shown]
	v_fma_f64 v[184:185], v[239:240], s[28:29], v[32:33]
	v_mul_f64 v[26:27], v[200:201], s[28:29]
	v_mul_f64 v[36:37], v[204:205], s[16:17]
	v_fma_f64 v[4:5], v[215:216], s[10:11], -v[18:19]
	v_fma_f64 v[6:7], v[217:218], s[22:23], v[20:21]
	v_fma_f64 v[2:3], v[217:218], s[18:19], v[16:17]
	;; [unrolled: 1-line block ×4, first 2 shown]
	v_mul_f64 v[38:39], v[206:207], s[30:31]
	v_fma_f64 v[182:183], v[235:236], s[20:21], -v[26:27]
	v_add_f64 v[231:232], v[164:165], -v[112:113]
	v_add_f64 v[4:5], v[128:129], v[4:5]
	v_add_f64 v[6:7], v[130:131], v[6:7]
	;; [unrolled: 1-line block ×4, first 2 shown]
	v_add_f64 v[219:220], v[162:163], -v[134:135]
	v_add_f64 v[229:230], v[162:163], v[134:135]
	s_mov_b32 s26, 0xc61f0d01
	s_mov_b32 s36, 0x923c349f
	v_add_f64 v[4:5], v[182:183], v[4:5]
	v_add_f64 v[6:7], v[184:185], v[6:7]
	;; [unrolled: 1-line block ×3, first 2 shown]
	v_fma_f64 v[180:181], v[210:211], s[24:25], v[36:37]
	v_fma_f64 v[182:183], v[208:209], s[34:35], -v[38:39]
	s_mov_b32 s27, 0xbfd183b1
	s_mov_b32 s37, 0xbfeec746
	;; [unrolled: 1-line block ×4, first 2 shown]
	v_add_f64 v[247:248], v[160:161], v[132:133]
	v_add_f64 v[249:250], v[160:161], -v[132:133]
	v_add_f64 v[2:3], v[180:181], v[2:3]
	v_add_f64 v[4:5], v[182:183], v[4:5]
	v_mul_f64 v[182:183], v[225:226], s[42:43]
	v_fma_f64 v[0:1], v[215:216], s[8:9], -v[0:1]
	v_fma_f64 v[188:189], v[239:240], s[30:31], v[12:13]
	v_mul_f64 v[12:13], v[204:205], s[34:35]
	s_mov_b32 s38, 0x910ea3b9
	s_mov_b32 s44, 0x4363dd80
	;; [unrolled: 1-line block ×5, first 2 shown]
	buffer_store_dword v12, off, s[64:67], 0 offset:280 ; 4-byte Folded Spill
	s_nop 0
	buffer_store_dword v13, off, s[64:67], 0 offset:284 ; 4-byte Folded Spill
	v_add_f64 v[0:1], v[128:129], v[0:1]
	buffer_store_dword v14, off, s[64:67], 0 offset:288 ; 4-byte Folded Spill
	s_nop 0
	buffer_store_dword v15, off, s[64:67], 0 offset:292 ; 4-byte Folded Spill
	buffer_store_dword v186, off, s[64:67], 0 offset:328 ; 4-byte Folded Spill
	s_nop 0
	buffer_store_dword v187, off, s[64:67], 0 offset:332 ; 4-byte Folded Spill
	v_add_f64 v[108:109], v[188:189], v[108:109]
	s_mov_b32 s52, s22
	v_mul_f64 v[188:189], v[219:220], s[44:45]
	v_add_f64 v[253:254], v[158:159], v[138:139]
	v_add_f64 v[233:234], v[156:157], v[136:137]
	v_add_f64 v[0:1], v[110:111], v[0:1]
	v_fma_f64 v[110:111], v[208:209], s[16:17], -v[34:35]
	v_add_f64 v[237:238], v[156:157], -v[136:137]
	s_mov_b32 s54, s44
	v_add_f64 v[212:213], v[152:153], v[140:141]
	v_add_f64 v[221:222], v[152:153], -v[140:141]
	v_mul_f64 v[190:191], v[253:254], s[26:27]
	v_mul_f64 v[194:195], v[253:254], s[8:9]
	s_mov_b32 s56, s24
	v_add_f64 v[0:1], v[110:111], v[0:1]
	s_mov_b32 s51, 0x3fd71e95
	s_mov_b32 s50, s18
	v_add_f64 v[245:246], v[148:149], -v[144:145]
	v_mul_f64 v[8:9], v[223:224], s[28:29]
	v_add_f64 v[243:244], v[148:149], v[144:145]
	v_mul_f64 v[46:47], v[241:242], s[20:21]
	v_mul_f64 v[44:45], v[225:226], s[8:9]
	s_mov_b32 s60, s30
	s_mov_b32 s63, 0x3fefdd0d
	;; [unrolled: 1-line block ×3, first 2 shown]
	v_fma_f64 v[110:111], v[210:211], s[30:31], v[12:13]
	v_mul_f64 v[12:13], v[251:252], s[28:29]
	v_fma_f64 v[184:185], v[208:209], s[42:43], -v[14:15]
	v_mul_f64 v[14:15], v[251:252], s[40:41]
	v_fma_f64 v[186:187], v[210:211], s[48:49], v[186:187]
	buffer_store_dword v12, off, s[64:67], 0 offset:248 ; 4-byte Folded Spill
	s_nop 0
	buffer_store_dword v13, off, s[64:67], 0 offset:252 ; 4-byte Folded Spill
	v_add_f64 v[6:7], v[110:111], v[6:7]
	v_add_f64 v[10:11], v[184:185], v[10:11]
	;; [unrolled: 1-line block ×3, first 2 shown]
	v_mul_f64 v[184:185], v[251:252], s[46:47]
	v_mul_f64 v[186:187], v[225:226], s[26:27]
	v_fma_f64 v[110:111], v[227:228], s[20:21], -v[12:13]
	v_mul_f64 v[12:13], v[225:226], s[20:21]
	buffer_store_dword v12, off, s[64:67], 0 offset:264 ; 4-byte Folded Spill
	s_nop 0
	buffer_store_dword v13, off, s[64:67], 0 offset:268 ; 4-byte Folded Spill
	buffer_store_dword v14, off, s[64:67], 0 offset:272 ; 4-byte Folded Spill
	s_nop 0
	buffer_store_dword v15, off, s[64:67], 0 offset:276 ; 4-byte Folded Spill
	v_add_f64 v[0:1], v[110:111], v[0:1]
	buffer_store_dword v182, off, s[64:67], 0 offset:320 ; 4-byte Folded Spill
	s_nop 0
	buffer_store_dword v183, off, s[64:67], 0 offset:324 ; 4-byte Folded Spill
	buffer_store_dword v184, off, s[64:67], 0 offset:360 ; 4-byte Folded Spill
	s_nop 0
	buffer_store_dword v185, off, s[64:67], 0 offset:364 ; 4-byte Folded Spill
	;; [unrolled: 3-line block ×3, first 2 shown]
	v_fma_f64 v[110:111], v[231:232], s[28:29], v[12:13]
	v_fma_f64 v[180:181], v[227:228], s[42:43], -v[14:15]
	v_mul_f64 v[12:13], v[219:220], s[36:37]
	v_mul_f64 v[14:15], v[229:230], s[26:27]
	buffer_store_dword v12, off, s[64:67], 0 offset:296 ; 4-byte Folded Spill
	s_nop 0
	buffer_store_dword v13, off, s[64:67], 0 offset:300 ; 4-byte Folded Spill
	buffer_store_dword v14, off, s[64:67], 0 offset:304 ; 4-byte Folded Spill
	s_nop 0
	buffer_store_dword v15, off, s[64:67], 0 offset:308 ; 4-byte Folded Spill
	v_add_f64 v[2:3], v[110:111], v[2:3]
	v_add_f64 v[4:5], v[180:181], v[4:5]
	buffer_store_dword v188, off, s[64:67], 0 offset:312 ; 4-byte Folded Spill
	s_nop 0
	buffer_store_dword v189, off, s[64:67], 0 offset:316 ; 4-byte Folded Spill
	v_fma_f64 v[186:187], v[231:232], s[46:47], v[186:187]
	v_fma_f64 v[184:185], v[227:228], s[26:27], -v[184:185]
	v_fma_f64 v[182:183], v[231:232], s[40:41], v[182:183]
	v_add_f64 v[108:109], v[186:187], v[108:109]
	v_mul_f64 v[186:187], v[229:230], s[10:11]
	v_add_f64 v[10:11], v[184:185], v[10:11]
	v_add_f64 v[6:7], v[182:183], v[6:7]
	v_fma_f64 v[110:111], v[247:248], s[26:27], -v[12:13]
	v_fma_f64 v[180:181], v[249:250], s[36:37], v[14:15]
	v_mul_f64 v[12:13], v[229:230], s[38:39]
	v_mul_f64 v[14:15], v[219:220], s[52:53]
	buffer_store_dword v12, off, s[64:67], 0 offset:368 ; 4-byte Folded Spill
	s_nop 0
	buffer_store_dword v13, off, s[64:67], 0 offset:372 ; 4-byte Folded Spill
	buffer_store_dword v14, off, s[64:67], 0 offset:376 ; 4-byte Folded Spill
	s_nop 0
	buffer_store_dword v15, off, s[64:67], 0 offset:380 ; 4-byte Folded Spill
	v_add_f64 v[184:185], v[110:111], v[0:1]
	v_add_f64 v[110:111], v[158:159], -v[138:139]
	buffer_store_dword v186, off, s[64:67], 0 offset:432 ; 4-byte Folded Spill
	s_nop 0
	buffer_store_dword v187, off, s[64:67], 0 offset:436 ; 4-byte Folded Spill
	v_add_f64 v[2:3], v[180:181], v[2:3]
	v_fma_f64 v[182:183], v[247:248], s[38:39], -v[188:189]
	v_mul_f64 v[188:189], v[110:111], s[46:47]
	v_mul_f64 v[192:193], v[110:111], s[18:19]
	v_add_f64 v[4:5], v[182:183], v[4:5]
	v_fma_f64 v[0:1], v[249:250], s[44:45], v[12:13]
	v_fma_f64 v[180:181], v[247:248], s[10:11], -v[14:15]
	v_mul_f64 v[12:13], v[110:111], s[30:31]
	v_mul_f64 v[14:15], v[253:254], s[34:35]
	buffer_store_dword v12, off, s[64:67], 0 offset:336 ; 4-byte Folded Spill
	s_nop 0
	buffer_store_dword v13, off, s[64:67], 0 offset:340 ; 4-byte Folded Spill
	buffer_store_dword v14, off, s[64:67], 0 offset:344 ; 4-byte Folded Spill
	s_nop 0
	buffer_store_dword v15, off, s[64:67], 0 offset:348 ; 4-byte Folded Spill
	v_fma_f64 v[182:183], v[249:250], s[52:53], v[186:187]
	v_add_f64 v[6:7], v[0:1], v[6:7]
	v_add_f64 v[10:11], v[180:181], v[10:11]
	v_add_f64 v[0:1], v[154:155], -v[142:143]
	buffer_store_dword v188, off, s[64:67], 0 offset:352 ; 4-byte Folded Spill
	s_nop 0
	buffer_store_dword v189, off, s[64:67], 0 offset:356 ; 4-byte Folded Spill
	buffer_store_dword v190, off, s[64:67], 0 offset:416 ; 4-byte Folded Spill
	s_nop 0
	buffer_store_dword v191, off, s[64:67], 0 offset:420 ; 4-byte Folded Spill
	;; [unrolled: 3-line block ×4, first 2 shown]
	v_add_f64 v[180:181], v[182:183], v[108:109]
	v_add_f64 v[108:109], v[154:155], v[142:143]
	v_mul_f64 v[42:43], v[108:109], s[20:21]
	v_fma_f64 v[182:183], v[233:234], s[34:35], -v[12:13]
	v_fma_f64 v[186:187], v[237:238], s[30:31], v[14:15]
	v_mul_f64 v[12:13], v[0:1], s[54:55]
	v_mul_f64 v[14:15], v[108:109], s[38:39]
	buffer_store_dword v12, off, s[64:67], 0 offset:392 ; 4-byte Folded Spill
	s_nop 0
	buffer_store_dword v13, off, s[64:67], 0 offset:396 ; 4-byte Folded Spill
	buffer_store_dword v14, off, s[64:67], 0 offset:400 ; 4-byte Folded Spill
	s_nop 0
	buffer_store_dword v15, off, s[64:67], 0 offset:404 ; 4-byte Folded Spill
	v_fma_f64 v[188:189], v[233:234], s[26:27], -v[188:189]
	v_fma_f64 v[190:191], v[237:238], s[46:47], v[190:191]
	v_add_f64 v[182:183], v[182:183], v[184:185]
	v_add_f64 v[2:3], v[186:187], v[2:3]
	v_fma_f64 v[192:193], v[233:234], s[8:9], -v[192:193]
	v_add_f64 v[184:185], v[188:189], v[4:5]
	v_add_f64 v[6:7], v[190:191], v[6:7]
	v_mul_f64 v[190:191], v[108:109], s[16:17]
	v_fma_f64 v[4:5], v[237:238], s[18:19], v[194:195]
	v_add_f64 v[10:11], v[192:193], v[10:11]
	v_add_f64 v[180:181], v[4:5], v[180:181]
	v_add_f64 v[4:5], v[150:151], -v[146:147]
	v_mul_f64 v[194:195], v[4:5], s[50:51]
	v_fma_f64 v[186:187], v[212:213], s[38:39], -v[12:13]
	v_fma_f64 v[188:189], v[221:222], s[54:55], v[14:15]
	v_mul_f64 v[12:13], v[0:1], s[56:57]
	v_mul_f64 v[14:15], v[0:1], s[28:29]
	buffer_store_dword v12, off, s[64:67], 0 offset:408 ; 4-byte Folded Spill
	s_nop 0
	buffer_store_dword v13, off, s[64:67], 0 offset:412 ; 4-byte Folded Spill
	buffer_store_dword v190, off, s[64:67], 0 offset:472 ; 4-byte Folded Spill
	s_nop 0
	buffer_store_dword v191, off, s[64:67], 0 offset:476 ; 4-byte Folded Spill
	;; [unrolled: 3-line block ×3, first 2 shown]
	v_add_f64 v[182:183], v[186:187], v[182:183]
	v_add_f64 v[186:187], v[188:189], v[2:3]
	;; [unrolled: 1-line block ×3, first 2 shown]
	buffer_store_dword v42, off, s[64:67], 0 offset:528 ; 4-byte Folded Spill
	s_nop 0
	buffer_store_dword v43, off, s[64:67], 0 offset:532 ; 4-byte Folded Spill
	v_mul_f64 v[196:197], v[2:3], s[8:9]
	v_fma_f64 v[188:189], v[212:213], s[16:17], -v[12:13]
	v_mul_f64 v[12:13], v[4:5], s[40:41]
	v_fma_f64 v[192:193], v[212:213], s[20:21], -v[14:15]
	v_mul_f64 v[14:15], v[2:3], s[42:43]
	buffer_store_dword v12, off, s[64:67], 0 offset:440 ; 4-byte Folded Spill
	s_nop 0
	buffer_store_dword v13, off, s[64:67], 0 offset:444 ; 4-byte Folded Spill
	buffer_store_dword v14, off, s[64:67], 0 offset:448 ; 4-byte Folded Spill
	s_nop 0
	buffer_store_dword v15, off, s[64:67], 0 offset:452 ; 4-byte Folded Spill
	v_add_f64 v[10:11], v[192:193], v[10:11]
	buffer_store_dword v194, off, s[64:67], 0 offset:464 ; 4-byte Folded Spill
	s_nop 0
	buffer_store_dword v195, off, s[64:67], 0 offset:468 ; 4-byte Folded Spill
	buffer_store_dword v196, off, s[64:67], 0 offset:488 ; 4-byte Folded Spill
	s_nop 0
	buffer_store_dword v197, off, s[64:67], 0 offset:492 ; 4-byte Folded Spill
	;; [unrolled: 3-line block ×3, first 2 shown]
	v_fma_f64 v[190:191], v[221:222], s[56:57], v[190:191]
	v_add_f64 v[188:189], v[188:189], v[184:185]
	v_fma_f64 v[184:185], v[221:222], s[28:29], v[42:43]
	v_mul_f64 v[42:43], v[2:3], s[38:39]
	v_add_f64 v[6:7], v[190:191], v[6:7]
	v_add_f64 v[198:199], v[184:185], v[180:181]
	v_fma_f64 v[190:191], v[243:244], s[42:43], -v[12:13]
	v_fma_f64 v[192:193], v[245:246], s[40:41], v[14:15]
	v_mul_f64 v[14:15], v[4:5], s[54:55]
	buffer_store_dword v14, off, s[64:67], 0 offset:496 ; 4-byte Folded Spill
	s_nop 0
	buffer_store_dword v15, off, s[64:67], 0 offset:500 ; 4-byte Folded Spill
	v_fma_f64 v[196:197], v[245:246], s[50:51], v[196:197]
	v_fma_f64 v[194:195], v[243:244], s[8:9], -v[194:195]
	v_fma_f64 v[12:13], v[215:216], s[20:21], -v[8:9]
	v_add_f64 v[184:185], v[190:191], v[182:183]
	v_mul_f64 v[8:9], v[200:201], s[40:41]
	buffer_store_dword v42, off, s[64:67], 0 offset:504 ; 4-byte Folded Spill
	s_nop 0
	buffer_store_dword v43, off, s[64:67], 0 offset:508 ; 4-byte Folded Spill
	v_add_f64 v[186:187], v[192:193], v[186:187]
	v_add_f64 v[182:183], v[196:197], v[6:7]
	;; [unrolled: 1-line block ×4, first 2 shown]
	v_fma_f64 v[6:7], v[243:244], s[38:39], -v[14:15]
	v_fma_f64 v[14:15], v[245:246], s[54:55], v[42:43]
	v_mul_f64 v[42:43], v[204:205], s[26:27]
	v_add_f64 v[188:189], v[6:7], v[10:11]
	v_fma_f64 v[6:7], v[235:236], s[42:43], -v[8:9]
	v_fma_f64 v[10:11], v[217:218], s[28:29], v[46:47]
	v_add_f64 v[190:191], v[14:15], v[198:199]
	v_mul_f64 v[14:15], v[251:252], s[50:51]
	v_add_f64 v[6:7], v[6:7], v[12:13]
	v_mul_f64 v[12:13], v[202:203], s[42:43]
	buffer_store_dword v12, off, s[64:67], 0 offset:576 ; 4-byte Folded Spill
	s_nop 0
	buffer_store_dword v13, off, s[64:67], 0 offset:580 ; 4-byte Folded Spill
	v_add_f64 v[10:11], v[130:131], v[10:11]
	v_fma_f64 v[12:13], v[239:240], s[40:41], v[12:13]
	v_add_f64 v[10:11], v[12:13], v[10:11]
	v_mul_f64 v[12:13], v[206:207], s[46:47]
	buffer_store_dword v12, off, s[64:67], 0 offset:544 ; 4-byte Folded Spill
	s_nop 0
	buffer_store_dword v13, off, s[64:67], 0 offset:548 ; 4-byte Folded Spill
	v_fma_f64 v[12:13], v[208:209], s[26:27], -v[12:13]
	v_add_f64 v[6:7], v[12:13], v[6:7]
	v_fma_f64 v[12:13], v[210:211], s[46:47], v[42:43]
	v_add_f64 v[10:11], v[12:13], v[10:11]
	v_fma_f64 v[12:13], v[227:228], s[8:9], -v[14:15]
	v_add_f64 v[6:7], v[12:13], v[6:7]
	v_fma_f64 v[12:13], v[231:232], s[50:51], v[44:45]
	v_add_f64 v[10:11], v[12:13], v[10:11]
	v_mul_f64 v[12:13], v[219:220], s[24:25]
	buffer_store_dword v12, off, s[64:67], 0 offset:560 ; 4-byte Folded Spill
	s_nop 0
	buffer_store_dword v13, off, s[64:67], 0 offset:564 ; 4-byte Folded Spill
	v_fma_f64 v[12:13], v[247:248], s[16:17], -v[12:13]
	v_add_f64 v[6:7], v[12:13], v[6:7]
	v_mul_f64 v[12:13], v[229:230], s[16:17]
	buffer_store_dword v12, off, s[64:67], 0 offset:584 ; 4-byte Folded Spill
	s_nop 0
	buffer_store_dword v13, off, s[64:67], 0 offset:588 ; 4-byte Folded Spill
	v_fma_f64 v[12:13], v[249:250], s[24:25], v[12:13]
	v_add_f64 v[10:11], v[12:13], v[10:11]
	v_mul_f64 v[12:13], v[110:111], s[54:55]
	buffer_store_dword v12, off, s[64:67], 0 offset:568 ; 4-byte Folded Spill
	s_nop 0
	buffer_store_dword v13, off, s[64:67], 0 offset:572 ; 4-byte Folded Spill
	v_fma_f64 v[12:13], v[233:234], s[38:39], -v[12:13]
	v_add_f64 v[6:7], v[12:13], v[6:7]
	v_mul_f64 v[12:13], v[253:254], s[38:39]
	buffer_store_dword v12, off, s[64:67], 0 offset:592 ; 4-byte Folded Spill
	s_nop 0
	buffer_store_dword v13, off, s[64:67], 0 offset:596 ; 4-byte Folded Spill
	;; [unrolled: 12-line block ×4, first 2 shown]
	v_mul_f64 v[12:13], v[202:203], s[38:39]
	v_fma_f64 v[6:7], v[245:246], s[52:53], v[6:7]
	v_add_f64 v[198:199], v[6:7], v[10:11]
	v_mul_f64 v[6:7], v[223:224], s[36:37]
	buffer_store_dword v6, off, s[64:67], 0 offset:616 ; 4-byte Folded Spill
	s_nop 0
	buffer_store_dword v7, off, s[64:67], 0 offset:620 ; 4-byte Folded Spill
	v_mul_f64 v[10:11], v[200:201], s[44:45]
	buffer_store_dword v10, off, s[64:67], 0 offset:624 ; 4-byte Folded Spill
	s_nop 0
	buffer_store_dword v11, off, s[64:67], 0 offset:628 ; 4-byte Folded Spill
	v_fma_f64 v[6:7], v[215:216], s[26:27], -v[6:7]
	v_add_f64 v[6:7], v[128:129], v[6:7]
	v_fma_f64 v[10:11], v[235:236], s[38:39], -v[10:11]
	v_add_f64 v[6:7], v[10:11], v[6:7]
	v_mul_f64 v[10:11], v[241:242], s[26:27]
	buffer_store_dword v10, off, s[64:67], 0 offset:680 ; 4-byte Folded Spill
	s_nop 0
	buffer_store_dword v11, off, s[64:67], 0 offset:684 ; 4-byte Folded Spill
	buffer_store_dword v12, off, s[64:67], 0 offset:688 ; 4-byte Folded Spill
	s_nop 0
	buffer_store_dword v13, off, s[64:67], 0 offset:692 ; 4-byte Folded Spill
	v_fma_f64 v[10:11], v[217:218], s[36:37], v[10:11]
	v_fma_f64 v[12:13], v[239:240], s[44:45], v[12:13]
	v_add_f64 v[10:11], v[130:131], v[10:11]
	v_add_f64 v[10:11], v[12:13], v[10:11]
	v_mul_f64 v[12:13], v[206:207], s[52:53]
	buffer_store_dword v12, off, s[64:67], 0 offset:640 ; 4-byte Folded Spill
	s_nop 0
	buffer_store_dword v13, off, s[64:67], 0 offset:644 ; 4-byte Folded Spill
	v_fma_f64 v[12:13], v[208:209], s[10:11], -v[12:13]
	v_add_f64 v[6:7], v[12:13], v[6:7]
	v_mul_f64 v[12:13], v[204:205], s[10:11]
	buffer_store_dword v12, off, s[64:67], 0 offset:704 ; 4-byte Folded Spill
	s_nop 0
	buffer_store_dword v13, off, s[64:67], 0 offset:708 ; 4-byte Folded Spill
	v_fma_f64 v[12:13], v[210:211], s[52:53], v[12:13]
	v_add_f64 v[10:11], v[12:13], v[10:11]
	v_mul_f64 v[12:13], v[251:252], s[24:25]
	buffer_store_dword v12, off, s[64:67], 0 offset:632 ; 4-byte Folded Spill
	s_nop 0
	buffer_store_dword v13, off, s[64:67], 0 offset:636 ; 4-byte Folded Spill
	v_fma_f64 v[12:13], v[227:228], s[16:17], -v[12:13]
	v_add_f64 v[6:7], v[12:13], v[6:7]
	v_mul_f64 v[12:13], v[225:226], s[16:17]
	buffer_store_dword v12, off, s[64:67], 0 offset:696 ; 4-byte Folded Spill
	s_nop 0
	buffer_store_dword v13, off, s[64:67], 0 offset:700 ; 4-byte Folded Spill
	v_fma_f64 v[12:13], v[231:232], s[24:25], v[12:13]
	;; [unrolled: 12-line block ×5, first 2 shown]
	v_add_f64 v[10:11], v[12:13], v[10:11]
	v_mul_f64 v[12:13], v[4:5], s[30:31]
	buffer_store_dword v12, off, s[64:67], 0 offset:672 ; 4-byte Folded Spill
	s_nop 0
	buffer_store_dword v13, off, s[64:67], 0 offset:676 ; 4-byte Folded Spill
	s_waitcnt vmcnt(0)
	s_barrier
	v_fma_f64 v[12:13], v[243:244], s[34:35], -v[12:13]
	v_add_f64 v[192:193], v[12:13], v[6:7]
	v_mul_f64 v[12:13], v[2:3], s[34:35]
	v_fma_f64 v[6:7], v[245:246], s[30:31], v[12:13]
	v_add_f64 v[194:195], v[6:7], v[10:11]
	s_and_saveexec_b64 s[58:59], s[0:1]
	s_cbranch_execz .LBB0_17
; %bb.16:
	v_mul_f64 v[6:7], v[217:218], s[40:41]
	buffer_store_dword v12, off, s[64:67], 0 offset:888 ; 4-byte Folded Spill
	s_nop 0
	buffer_store_dword v13, off, s[64:67], 0 offset:892 ; 4-byte Folded Spill
	v_mul_f64 v[12:13], v[239:240], s[50:51]
	buffer_store_dword v14, off, s[64:67], 0 offset:856 ; 4-byte Folded Spill
	s_nop 0
	buffer_store_dword v15, off, s[64:67], 0 offset:860 ; 4-byte Folded Spill
	buffer_store_dword v16, off, s[64:67], 0 offset:776 ; 4-byte Folded Spill
	s_nop 0
	buffer_store_dword v17, off, s[64:67], 0 offset:780 ; 4-byte Folded Spill
	;; [unrolled: 3-line block ×3, first 2 shown]
	v_mul_f64 v[18:19], v[200:201], s[50:51]
	buffer_store_dword v8, off, s[64:67], 0 offset:872 ; 4-byte Folded Spill
	s_nop 0
	buffer_store_dword v9, off, s[64:67], 0 offset:876 ; 4-byte Folded Spill
	v_fma_f64 v[10:11], v[241:242], s[42:43], v[6:7]
	buffer_store_dword v20, off, s[64:67], 0 offset:832 ; 4-byte Folded Spill
	s_nop 0
	buffer_store_dword v21, off, s[64:67], 0 offset:836 ; 4-byte Folded Spill
	v_fma_f64 v[14:15], v[202:203], s[8:9], v[12:13]
	buffer_store_dword v22, off, s[64:67], 0 offset:784 ; 4-byte Folded Spill
	s_nop 0
	buffer_store_dword v23, off, s[64:67], 0 offset:788 ; 4-byte Folded Spill
	buffer_store_dword v24, off, s[64:67], 0 offset:792 ; 4-byte Folded Spill
	s_nop 0
	buffer_store_dword v25, off, s[64:67], 0 offset:796 ; 4-byte Folded Spill
	;; [unrolled: 3-line block ×3, first 2 shown]
	v_fma_f64 v[8:9], v[235:236], s[8:9], -v[18:19]
	buffer_store_dword v28, off, s[64:67], 0 offset:848 ; 4-byte Folded Spill
	s_nop 0
	buffer_store_dword v29, off, s[64:67], 0 offset:852 ; 4-byte Folded Spill
	v_add_f64 v[10:11], v[130:131], v[10:11]
	buffer_store_dword v30, off, s[64:67], 0 offset:880 ; 4-byte Folded Spill
	s_nop 0
	buffer_store_dword v31, off, s[64:67], 0 offset:884 ; 4-byte Folded Spill
	buffer_store_dword v32, off, s[64:67], 0 offset:840 ; 4-byte Folded Spill
	s_nop 0
	buffer_store_dword v33, off, s[64:67], 0 offset:844 ; 4-byte Folded Spill
	;; [unrolled: 3-line block ×7, first 2 shown]
	v_add_f64 v[10:11], v[14:15], v[10:11]
	v_mul_f64 v[14:15], v[223:224], s[40:41]
	v_fma_f64 v[6:7], v[241:242], s[42:43], -v[6:7]
	v_fma_f64 v[16:17], v[215:216], s[42:43], -v[14:15]
	v_add_f64 v[6:7], v[130:131], v[6:7]
	v_add_f64 v[16:17], v[128:129], v[16:17]
	;; [unrolled: 1-line block ×3, first 2 shown]
	v_mul_f64 v[16:17], v[210:211], s[54:55]
	v_fma_f64 v[20:21], v[204:205], s[38:39], v[16:17]
	v_add_f64 v[10:11], v[20:21], v[10:11]
	v_mul_f64 v[20:21], v[206:207], s[54:55]
	v_fma_f64 v[22:23], v[208:209], s[38:39], -v[20:21]
	v_add_f64 v[8:9], v[22:23], v[8:9]
	v_mul_f64 v[22:23], v[231:232], s[52:53]
	v_fma_f64 v[24:25], v[225:226], s[10:11], v[22:23]
	v_add_f64 v[10:11], v[24:25], v[10:11]
	v_mul_f64 v[24:25], v[251:252], s[52:53]
	v_fma_f64 v[26:27], v[227:228], s[10:11], -v[24:25]
	v_add_f64 v[8:9], v[26:27], v[8:9]
	;; [unrolled: 6-line block ×5, first 2 shown]
	v_mul_f64 v[38:39], v[245:246], s[62:63]
	v_fma_f64 v[40:41], v[2:3], s[20:21], v[38:39]
	v_add_f64 v[42:43], v[40:41], v[10:11]
	v_mul_f64 v[10:11], v[4:5], s[62:63]
	v_fma_f64 v[40:41], v[243:244], s[20:21], -v[10:11]
	v_fma_f64 v[10:11], v[243:244], s[20:21], v[10:11]
	v_add_f64 v[40:41], v[40:41], v[8:9]
	v_fma_f64 v[8:9], v[202:203], s[8:9], -v[12:13]
	v_fma_f64 v[12:13], v[235:236], s[8:9], v[18:19]
	buffer_store_dword v40, off, s[64:67], 0 offset:736 ; 4-byte Folded Spill
	s_nop 0
	buffer_store_dword v41, off, s[64:67], 0 offset:740 ; 4-byte Folded Spill
	buffer_store_dword v42, off, s[64:67], 0 offset:744 ; 4-byte Folded Spill
	;; [unrolled: 1-line block ×3, first 2 shown]
	v_add_f64 v[6:7], v[8:9], v[6:7]
	v_fma_f64 v[8:9], v[215:216], s[42:43], v[14:15]
	v_mul_f64 v[14:15], v[239:240], s[56:57]
	v_add_f64 v[8:9], v[128:129], v[8:9]
	v_add_f64 v[8:9], v[12:13], v[8:9]
	v_fma_f64 v[12:13], v[204:205], s[38:39], -v[16:17]
	v_fma_f64 v[16:17], v[202:203], s[16:17], v[14:15]
	v_fma_f64 v[14:15], v[202:203], s[16:17], -v[14:15]
	v_add_f64 v[6:7], v[12:13], v[6:7]
	v_fma_f64 v[12:13], v[208:209], s[38:39], v[20:21]
	v_add_f64 v[8:9], v[12:13], v[8:9]
	v_fma_f64 v[12:13], v[225:226], s[10:11], -v[22:23]
	v_add_f64 v[6:7], v[12:13], v[6:7]
	v_fma_f64 v[12:13], v[227:228], s[10:11], v[24:25]
	v_add_f64 v[8:9], v[12:13], v[8:9]
	;; [unrolled: 4-line block ×3, first 2 shown]
	v_fma_f64 v[12:13], v[253:254], s[16:17], -v[30:31]
	v_mul_f64 v[30:31], v[200:201], s[56:57]
	v_add_f64 v[6:7], v[12:13], v[6:7]
	v_fma_f64 v[12:13], v[108:109], s[26:27], -v[34:35]
	v_add_f64 v[6:7], v[12:13], v[6:7]
	v_fma_f64 v[12:13], v[233:234], s[16:17], v[32:33]
	v_fma_f64 v[32:33], v[235:236], s[16:17], -v[30:31]
	v_add_f64 v[8:9], v[12:13], v[8:9]
	v_fma_f64 v[12:13], v[212:213], s[26:27], v[36:37]
	v_add_f64 v[8:9], v[12:13], v[8:9]
	v_fma_f64 v[12:13], v[2:3], s[20:21], -v[38:39]
	v_add_f64 v[10:11], v[10:11], v[8:9]
	v_add_f64 v[12:13], v[12:13], v[6:7]
	buffer_store_dword v10, off, s[64:67], 0 offset:752 ; 4-byte Folded Spill
	s_nop 0
	buffer_store_dword v11, off, s[64:67], 0 offset:756 ; 4-byte Folded Spill
	buffer_store_dword v12, off, s[64:67], 0 offset:760 ; 4-byte Folded Spill
	;; [unrolled: 1-line block ×3, first 2 shown]
	v_mul_f64 v[10:11], v[217:218], s[54:55]
	v_add_f64 v[6:7], v[130:131], v[174:175]
	v_add_f64 v[8:9], v[128:129], v[172:173]
	v_fma_f64 v[12:13], v[241:242], s[38:39], v[10:11]
	v_fma_f64 v[10:11], v[241:242], s[38:39], -v[10:11]
	v_add_f64 v[6:7], v[6:7], v[178:179]
	v_add_f64 v[8:9], v[8:9], v[176:177]
	v_mov_b32_e32 v177, v47
	v_mov_b32_e32 v176, v46
	v_mul_f64 v[178:179], v[208:209], s[34:35]
	v_add_f64 v[12:13], v[130:131], v[12:13]
	v_add_f64 v[10:11], v[130:131], v[10:11]
	;; [unrolled: 1-line block ×5, first 2 shown]
	v_mul_f64 v[16:17], v[210:211], s[28:29]
	v_add_f64 v[10:11], v[14:15], v[10:11]
	v_add_f64 v[6:7], v[6:7], v[166:167]
	;; [unrolled: 1-line block ×3, first 2 shown]
	v_fma_f64 v[18:19], v[204:205], s[20:21], v[16:17]
	v_fma_f64 v[14:15], v[204:205], s[20:21], -v[16:17]
	v_fma_f64 v[16:17], v[235:236], s[16:17], v[30:31]
	v_add_f64 v[6:7], v[6:7], v[162:163]
	v_add_f64 v[8:9], v[8:9], v[160:161]
	v_mul_f64 v[162:163], v[208:209], s[42:43]
	v_add_f64 v[12:13], v[18:19], v[12:13]
	v_mul_f64 v[18:19], v[231:232], s[60:61]
	v_add_f64 v[10:11], v[14:15], v[10:11]
	v_add_f64 v[8:9], v[8:9], v[156:157]
	v_mul_f64 v[156:157], v[239:240], s[22:23]
	v_fma_f64 v[20:21], v[225:226], s[34:35], v[18:19]
	v_fma_f64 v[14:15], v[225:226], s[34:35], -v[18:19]
	v_add_f64 v[8:9], v[8:9], v[152:153]
	v_add_f64 v[12:13], v[20:21], v[12:13]
	v_mul_f64 v[20:21], v[249:250], s[18:19]
	v_add_f64 v[10:11], v[14:15], v[10:11]
	v_add_f64 v[8:9], v[8:9], v[148:149]
	v_fma_f64 v[22:23], v[229:230], s[8:9], v[20:21]
	v_fma_f64 v[14:15], v[229:230], s[8:9], -v[20:21]
	v_add_f64 v[8:9], v[8:9], v[144:145]
	v_add_f64 v[12:13], v[22:23], v[12:13]
	v_mul_f64 v[22:23], v[237:238], s[40:41]
	v_add_f64 v[10:11], v[14:15], v[10:11]
	v_add_f64 v[8:9], v[8:9], v[140:141]
	;; [unrolled: 7-line block ×4, first 2 shown]
	v_fma_f64 v[28:29], v[215:216], s[38:39], -v[26:27]
	v_fma_f64 v[14:15], v[215:216], s[38:39], v[26:27]
	v_add_f64 v[8:9], v[8:9], v[120:121]
	v_add_f64 v[28:29], v[128:129], v[28:29]
	;; [unrolled: 1-line block ×5, first 2 shown]
	v_mul_f64 v[32:33], v[206:207], s[28:29]
	v_add_f64 v[14:15], v[16:17], v[14:15]
	v_fma_f64 v[34:35], v[208:209], s[20:21], -v[32:33]
	v_fma_f64 v[16:17], v[208:209], s[20:21], v[32:33]
	v_add_f64 v[28:29], v[34:35], v[28:29]
	v_mul_f64 v[34:35], v[251:252], s[60:61]
	v_add_f64 v[14:15], v[16:17], v[14:15]
	v_fma_f64 v[36:37], v[227:228], s[34:35], -v[34:35]
	v_fma_f64 v[16:17], v[227:228], s[34:35], v[34:35]
	v_add_f64 v[28:29], v[36:37], v[28:29]
	;; [unrolled: 5-line block ×4, first 2 shown]
	v_mul_f64 v[40:41], v[0:1], s[52:53]
	v_add_f64 v[14:15], v[16:17], v[14:15]
	v_mul_f64 v[0:1], v[0:1], s[40:41]
	v_fma_f64 v[42:43], v[212:213], s[10:11], -v[40:41]
	v_fma_f64 v[16:17], v[212:213], s[10:11], v[40:41]
	v_add_f64 v[28:29], v[42:43], v[28:29]
	v_mul_f64 v[42:43], v[245:246], s[36:37]
	v_add_f64 v[14:15], v[16:17], v[14:15]
	v_fma_f64 v[172:173], v[2:3], s[26:27], v[42:43]
	v_fma_f64 v[16:17], v[2:3], s[26:27], -v[42:43]
	v_add_f64 v[174:175], v[172:173], v[12:13]
	v_mul_f64 v[12:13], v[4:5], s[36:37]
	v_add_f64 v[170:171], v[16:17], v[10:11]
	v_mul_f64 v[10:11], v[217:218], s[30:31]
	v_mul_f64 v[4:5], v[4:5], s[56:57]
	v_fma_f64 v[172:173], v[243:244], s[26:27], -v[12:13]
	v_fma_f64 v[12:13], v[243:244], s[26:27], v[12:13]
	v_add_f64 v[172:173], v[172:173], v[28:29]
	v_add_f64 v[168:169], v[12:13], v[14:15]
	v_fma_f64 v[12:13], v[241:242], s[34:35], v[10:11]
	v_mul_f64 v[14:15], v[239:240], s[46:47]
	v_mul_f64 v[28:29], v[200:201], s[46:47]
	v_fma_f64 v[10:11], v[241:242], s[34:35], -v[10:11]
	v_mul_f64 v[200:201], v[210:211], s[30:31]
	v_add_f64 v[12:13], v[130:131], v[12:13]
	v_fma_f64 v[16:17], v[202:203], s[26:27], v[14:15]
	v_fma_f64 v[32:33], v[235:236], s[26:27], -v[28:29]
	v_fma_f64 v[14:15], v[202:203], s[26:27], -v[14:15]
	v_add_f64 v[10:11], v[130:131], v[10:11]
	v_mul_f64 v[202:203], v[227:228], s[20:21]
	v_add_f64 v[12:13], v[16:17], v[12:13]
	v_mul_f64 v[16:17], v[210:211], s[18:19]
	v_add_f64 v[10:11], v[14:15], v[10:11]
	v_fma_f64 v[18:19], v[204:205], s[8:9], v[16:17]
	v_add_f64 v[12:13], v[18:19], v[12:13]
	v_mul_f64 v[18:19], v[231:232], s[54:55]
	v_fma_f64 v[20:21], v[225:226], s[38:39], v[18:19]
	v_fma_f64 v[14:15], v[225:226], s[38:39], -v[18:19]
	v_mul_f64 v[225:226], v[237:238], s[46:47]
	v_add_f64 v[12:13], v[20:21], v[12:13]
	v_mul_f64 v[20:21], v[249:250], s[62:63]
	v_fma_f64 v[22:23], v[229:230], s[20:21], v[20:21]
	v_add_f64 v[12:13], v[22:23], v[12:13]
	v_mul_f64 v[22:23], v[237:238], s[22:23]
	v_fma_f64 v[24:25], v[253:254], s[10:11], v[22:23]
	;; [unrolled: 3-line block ×3, first 2 shown]
	v_add_f64 v[12:13], v[26:27], v[12:13]
	v_mul_f64 v[26:27], v[223:224], s[30:31]
	v_mul_f64 v[223:224], v[233:234], s[34:35]
	v_fma_f64 v[30:31], v[215:216], s[34:35], -v[26:27]
	v_add_f64 v[30:31], v[128:129], v[30:31]
	v_add_f64 v[30:31], v[32:33], v[30:31]
	v_mul_f64 v[32:33], v[206:207], s[18:19]
	v_mul_f64 v[206:207], v[227:228], s[42:43]
	v_fma_f64 v[34:35], v[208:209], s[8:9], -v[32:33]
	v_add_f64 v[30:31], v[34:35], v[30:31]
	v_mul_f64 v[34:35], v[251:252], s[54:55]
	v_fma_f64 v[36:37], v[227:228], s[38:39], -v[34:35]
	v_add_f64 v[30:31], v[36:37], v[30:31]
	v_mul_f64 v[36:37], v[219:220], s[62:63]
	v_mul_f64 v[219:220], v[247:248], s[10:11]
	v_fma_f64 v[38:39], v[247:248], s[20:21], -v[36:37]
	v_add_f64 v[30:31], v[38:39], v[30:31]
	v_mul_f64 v[38:39], v[110:111], s[22:23]
	v_fma_f64 v[40:41], v[233:234], s[10:11], -v[38:39]
	v_add_f64 v[30:31], v[40:41], v[30:31]
	v_fma_f64 v[40:41], v[212:213], s[42:43], -v[0:1]
	v_fma_f64 v[0:1], v[212:213], s[42:43], v[0:1]
	v_add_f64 v[30:31], v[40:41], v[30:31]
	v_mul_f64 v[40:41], v[245:246], s[56:57]
	v_fma_f64 v[42:43], v[2:3], s[16:17], v[40:41]
	v_fma_f64 v[2:3], v[2:3], s[16:17], -v[40:41]
	v_mul_f64 v[40:41], v[217:218], s[22:23]
	v_add_f64 v[166:167], v[42:43], v[12:13]
	v_fma_f64 v[12:13], v[243:244], s[16:17], -v[4:5]
	v_fma_f64 v[4:5], v[243:244], s[16:17], v[4:5]
	v_mul_f64 v[42:43], v[215:216], s[16:17]
	v_add_f64 v[164:165], v[12:13], v[30:31]
	v_fma_f64 v[12:13], v[204:205], s[8:9], -v[16:17]
	v_add_f64 v[10:11], v[12:13], v[10:11]
	v_fma_f64 v[12:13], v[229:230], s[20:21], -v[20:21]
	v_mul_f64 v[20:21], v[239:240], s[40:41]
	v_add_f64 v[10:11], v[14:15], v[10:11]
	v_fma_f64 v[14:15], v[253:254], s[10:11], -v[22:23]
	v_add_f64 v[10:11], v[12:13], v[10:11]
	v_fma_f64 v[12:13], v[108:109], s[42:43], -v[24:25]
	v_add_f64 v[10:11], v[14:15], v[10:11]
	v_fma_f64 v[14:15], v[235:236], s[26:27], v[28:29]
	v_add_f64 v[10:11], v[12:13], v[10:11]
	v_fma_f64 v[12:13], v[215:216], s[34:35], v[26:27]
	v_add_f64 v[2:3], v[2:3], v[10:11]
	v_add_f64 v[12:13], v[128:129], v[12:13]
	buffer_load_dword v10, off, s[64:67], 0 offset:704 ; 4-byte Folded Reload
	buffer_load_dword v11, off, s[64:67], 0 offset:708 ; 4-byte Folded Reload
	v_add_f64 v[12:13], v[14:15], v[12:13]
	v_fma_f64 v[14:15], v[208:209], s[8:9], v[32:33]
	v_add_f64 v[12:13], v[14:15], v[12:13]
	v_fma_f64 v[14:15], v[227:228], s[38:39], v[34:35]
	;; [unrolled: 2-line block ×4, first 2 shown]
	v_add_f64 v[12:13], v[14:15], v[12:13]
	v_add_f64 v[0:1], v[0:1], v[12:13]
	buffer_load_dword v12, off, s[64:67], 0 offset:680 ; 4-byte Folded Reload
	buffer_load_dword v13, off, s[64:67], 0 offset:684 ; 4-byte Folded Reload
	buffer_load_dword v14, off, s[64:67], 0 offset:688 ; 4-byte Folded Reload
	buffer_load_dword v15, off, s[64:67], 0 offset:692 ; 4-byte Folded Reload
	v_add_f64 v[0:1], v[4:5], v[0:1]
	v_add_f64 v[4:5], v[6:7], v[158:159]
	v_mul_f64 v[6:7], v[210:211], s[52:53]
	v_mul_f64 v[158:159], v[235:236], s[34:35]
	v_add_f64 v[4:5], v[4:5], v[154:155]
	v_add_f64 v[4:5], v[4:5], v[150:151]
	s_waitcnt vmcnt(4)
	v_add_f64 v[6:7], v[10:11], -v[6:7]
	v_mul_f64 v[10:11], v[217:218], s[36:37]
	v_add_f64 v[4:5], v[4:5], v[146:147]
	v_add_f64 v[4:5], v[4:5], v[142:143]
	;; [unrolled: 1-line block ×6, first 2 shown]
	s_waitcnt vmcnt(2)
	v_add_f64 v[10:11], v[12:13], -v[10:11]
	v_mul_f64 v[12:13], v[239:240], s[44:45]
	v_add_f64 v[4:5], v[4:5], v[122:123]
	v_add_f64 v[10:11], v[130:131], v[10:11]
	s_waitcnt vmcnt(0)
	v_add_f64 v[12:13], v[14:15], -v[12:13]
	buffer_load_dword v14, off, s[64:67], 0 offset:696 ; 4-byte Folded Reload
	buffer_load_dword v15, off, s[64:67], 0 offset:700 ; 4-byte Folded Reload
	v_add_f64 v[126:127], v[4:5], v[126:127]
	v_add_f64 v[10:11], v[12:13], v[10:11]
	v_mul_f64 v[12:13], v[231:232], s[24:25]
	v_add_f64 v[6:7], v[6:7], v[10:11]
	v_mul_f64 v[10:11], v[249:250], s[40:41]
	s_waitcnt vmcnt(0)
	v_add_f64 v[12:13], v[14:15], -v[12:13]
	buffer_load_dword v14, off, s[64:67], 0 offset:712 ; 4-byte Folded Reload
	buffer_load_dword v15, off, s[64:67], 0 offset:716 ; 4-byte Folded Reload
	v_add_f64 v[6:7], v[12:13], v[6:7]
	v_mul_f64 v[12:13], v[237:238], s[62:63]
	s_waitcnt vmcnt(0)
	v_add_f64 v[10:11], v[14:15], -v[10:11]
	buffer_load_dword v14, off, s[64:67], 0 offset:720 ; 4-byte Folded Reload
	buffer_load_dword v15, off, s[64:67], 0 offset:724 ; 4-byte Folded Reload
	;; [unrolled: 6-line block ×5, first 2 shown]
	buffer_load_dword v16, off, s[64:67], 0 offset:616 ; 4-byte Folded Reload
	buffer_load_dword v17, off, s[64:67], 0 offset:620 ; 4-byte Folded Reload
	;; [unrolled: 1-line block ×4, first 2 shown]
	v_add_f64 v[6:7], v[12:13], v[6:7]
	s_waitcnt vmcnt(4)
	v_add_f64 v[10:11], v[10:11], v[14:15]
	v_mul_f64 v[14:15], v[215:216], s[26:27]
	s_waitcnt vmcnt(2)
	v_add_f64 v[14:15], v[14:15], v[16:17]
	v_mul_f64 v[16:17], v[235:236], s[38:39]
	v_add_f64 v[14:15], v[128:129], v[14:15]
	s_waitcnt vmcnt(0)
	v_add_f64 v[16:17], v[16:17], v[18:19]
	buffer_load_dword v18, off, s[64:67], 0 offset:632 ; 4-byte Folded Reload
	buffer_load_dword v19, off, s[64:67], 0 offset:636 ; 4-byte Folded Reload
	v_add_f64 v[14:15], v[16:17], v[14:15]
	v_mul_f64 v[16:17], v[227:228], s[16:17]
	v_add_f64 v[10:11], v[10:11], v[14:15]
	v_mul_f64 v[14:15], v[247:248], s[42:43]
	s_waitcnt vmcnt(0)
	v_add_f64 v[16:17], v[16:17], v[18:19]
	buffer_load_dword v18, off, s[64:67], 0 offset:648 ; 4-byte Folded Reload
	buffer_load_dword v19, off, s[64:67], 0 offset:652 ; 4-byte Folded Reload
	v_add_f64 v[10:11], v[16:17], v[10:11]
	v_mul_f64 v[16:17], v[233:234], s[20:21]
	s_waitcnt vmcnt(0)
	v_add_f64 v[14:15], v[14:15], v[18:19]
	buffer_load_dword v18, off, s[64:67], 0 offset:656 ; 4-byte Folded Reload
	buffer_load_dword v19, off, s[64:67], 0 offset:660 ; 4-byte Folded Reload
	;; [unrolled: 6-line block ×5, first 2 shown]
	buffer_load_dword v22, off, s[64:67], 0 offset:576 ; 4-byte Folded Reload
	buffer_load_dword v23, off, s[64:67], 0 offset:580 ; 4-byte Folded Reload
	v_add_f64 v[4:5], v[16:17], v[10:11]
	s_waitcnt vmcnt(2)
	v_add_f64 v[14:15], v[18:19], -v[14:15]
	s_waitcnt vmcnt(0)
	v_add_f64 v[20:21], v[22:23], -v[20:21]
	buffer_load_dword v22, off, s[64:67], 0 offset:584 ; 4-byte Folded Reload
	buffer_load_dword v23, off, s[64:67], 0 offset:588 ; 4-byte Folded Reload
	v_mul_f64 v[18:19], v[217:218], s[28:29]
	v_add_f64 v[18:19], v[176:177], -v[18:19]
	v_mul_f64 v[176:177], v[210:211], s[24:25]
	v_add_f64 v[18:19], v[130:131], v[18:19]
	v_add_f64 v[18:19], v[20:21], v[18:19]
	v_mul_f64 v[20:21], v[231:232], s[50:51]
	v_add_f64 v[14:15], v[14:15], v[18:19]
	v_mul_f64 v[18:19], v[249:250], s[24:25]
	v_add_f64 v[20:21], v[44:45], -v[20:21]
	v_add_f64 v[14:15], v[20:21], v[14:15]
	v_mul_f64 v[20:21], v[237:238], s[54:55]
	s_waitcnt vmcnt(0)
	v_add_f64 v[18:19], v[22:23], -v[18:19]
	buffer_load_dword v22, off, s[64:67], 0 offset:592 ; 4-byte Folded Reload
	buffer_load_dword v23, off, s[64:67], 0 offset:596 ; 4-byte Folded Reload
	v_add_f64 v[14:15], v[18:19], v[14:15]
	v_mul_f64 v[18:19], v[221:222], s[60:61]
	s_waitcnt vmcnt(0)
	v_add_f64 v[20:21], v[22:23], -v[20:21]
	buffer_load_dword v22, off, s[64:67], 0 offset:600 ; 4-byte Folded Reload
	buffer_load_dword v23, off, s[64:67], 0 offset:604 ; 4-byte Folded Reload
	v_add_f64 v[14:15], v[20:21], v[14:15]
	v_mul_f64 v[20:21], v[245:246], s[52:53]
	s_waitcnt vmcnt(0)
	v_add_f64 v[18:19], v[22:23], -v[18:19]
	buffer_load_dword v22, off, s[64:67], 0 offset:608 ; 4-byte Folded Reload
	buffer_load_dword v23, off, s[64:67], 0 offset:612 ; 4-byte Folded Reload
	v_add_f64 v[14:15], v[18:19], v[14:15]
	v_mul_f64 v[18:19], v[208:209], s[26:27]
	s_waitcnt vmcnt(0)
	v_add_f64 v[20:21], v[22:23], -v[20:21]
	buffer_load_dword v22, off, s[64:67], 0 offset:544 ; 4-byte Folded Reload
	buffer_load_dword v23, off, s[64:67], 0 offset:548 ; 4-byte Folded Reload
	buffer_load_dword v24, off, s[64:67], 0 offset:512 ; 4-byte Folded Reload
	buffer_load_dword v25, off, s[64:67], 0 offset:516 ; 4-byte Folded Reload
	;; [unrolled: 1-line block ×4, first 2 shown]
	s_waitcnt vmcnt(4)
	v_add_f64 v[18:19], v[18:19], v[22:23]
	v_mul_f64 v[22:23], v[215:216], s[20:21]
	s_waitcnt vmcnt(2)
	v_add_f64 v[22:23], v[22:23], v[24:25]
	v_mul_f64 v[24:25], v[235:236], s[42:43]
	v_add_f64 v[22:23], v[128:129], v[22:23]
	s_waitcnt vmcnt(0)
	v_add_f64 v[24:25], v[24:25], v[26:27]
	buffer_load_dword v26, off, s[64:67], 0 offset:856 ; 4-byte Folded Reload
	buffer_load_dword v27, off, s[64:67], 0 offset:860 ; 4-byte Folded Reload
	v_add_f64 v[22:23], v[24:25], v[22:23]
	v_mul_f64 v[24:25], v[227:228], s[8:9]
	v_add_f64 v[18:19], v[18:19], v[22:23]
	v_mul_f64 v[22:23], v[247:248], s[16:17]
	s_waitcnt vmcnt(0)
	v_add_f64 v[24:25], v[24:25], v[26:27]
	buffer_load_dword v26, off, s[64:67], 0 offset:560 ; 4-byte Folded Reload
	buffer_load_dword v27, off, s[64:67], 0 offset:564 ; 4-byte Folded Reload
	v_add_f64 v[18:19], v[24:25], v[18:19]
	v_mul_f64 v[24:25], v[217:218], s[24:25]
	s_waitcnt vmcnt(0)
	v_add_f64 v[22:23], v[22:23], v[26:27]
	buffer_load_dword v26, off, s[64:67], 0 offset:880 ; 4-byte Folded Reload
	buffer_load_dword v27, off, s[64:67], 0 offset:884 ; 4-byte Folded Reload
	buffer_load_dword v28, off, s[64:67], 0 offset:568 ; 4-byte Folded Reload
	buffer_load_dword v29, off, s[64:67], 0 offset:572 ; 4-byte Folded Reload
	buffer_load_dword v30, off, s[64:67], 0 offset:256 ; 4-byte Folded Reload
	buffer_load_dword v31, off, s[64:67], 0 offset:260 ; 4-byte Folded Reload
	v_add_f64 v[18:19], v[22:23], v[18:19]
	v_mul_f64 v[22:23], v[210:211], s[48:49]
	v_mul_f64 v[210:211], v[247:248], s[26:27]
	s_waitcnt vmcnt(4)
	v_add_f64 v[24:25], v[26:27], -v[24:25]
	v_mul_f64 v[26:27], v[233:234], s[38:39]
	v_add_f64 v[24:25], v[130:131], v[24:25]
	s_waitcnt vmcnt(2)
	v_add_f64 v[26:27], v[26:27], v[28:29]
	v_mul_f64 v[28:29], v[239:240], s[30:31]
	v_add_f64 v[18:19], v[26:27], v[18:19]
	s_waitcnt vmcnt(0)
	v_add_f64 v[28:29], v[30:31], -v[28:29]
	buffer_load_dword v30, off, s[64:67], 0 offset:328 ; 4-byte Folded Reload
	buffer_load_dword v31, off, s[64:67], 0 offset:332 ; 4-byte Folded Reload
	;; [unrolled: 1-line block ×18, first 2 shown]
	v_add_f64 v[24:25], v[28:29], v[24:25]
	v_mul_f64 v[28:29], v[231:232], s[46:47]
	v_mul_f64 v[26:27], v[217:218], s[18:19]
	;; [unrolled: 1-line block ×3, first 2 shown]
	s_waitcnt vmcnt(16)
	v_add_f64 v[22:23], v[30:31], -v[22:23]
	v_mul_f64 v[30:31], v[212:213], s[34:35]
	s_waitcnt vmcnt(12)
	v_add_f64 v[28:29], v[34:35], -v[28:29]
	v_mul_f64 v[34:35], v[249:250], s[52:53]
	s_waitcnt vmcnt(0)
	v_add_f64 v[42:43], v[42:43], v[44:45]
	buffer_load_dword v44, off, s[64:67], 0 offset:832 ; 4-byte Folded Reload
	buffer_load_dword v45, off, s[64:67], 0 offset:836 ; 4-byte Folded Reload
	v_add_f64 v[22:23], v[22:23], v[24:25]
	v_add_f64 v[34:35], v[38:39], -v[34:35]
	v_mul_f64 v[38:39], v[237:238], s[18:19]
	v_mul_f64 v[24:25], v[215:216], s[8:9]
	v_add_f64 v[30:31], v[30:31], v[32:33]
	v_mul_f64 v[32:33], v[243:244], s[10:11]
	v_add_f64 v[42:43], v[128:129], v[42:43]
	v_add_f64 v[22:23], v[28:29], v[22:23]
	v_mul_f64 v[28:29], v[215:216], s[10:11]
	v_add_f64 v[38:39], v[110:111], -v[38:39]
	v_mul_f64 v[110:111], v[239:240], s[28:29]
	v_add_f64 v[18:19], v[30:31], v[18:19]
	v_mul_f64 v[30:31], v[227:228], s[26:27]
	v_add_f64 v[32:33], v[32:33], v[36:37]
	;; [unrolled: 2-line block ×3, first 2 shown]
	v_mul_f64 v[227:228], v[233:234], s[8:9]
	v_mul_f64 v[34:35], v[235:236], s[20:21]
	;; [unrolled: 1-line block ×3, first 2 shown]
	v_add_f64 v[30:31], v[30:31], v[160:161]
	v_mul_f64 v[160:161], v[208:209], s[16:17]
	v_mul_f64 v[208:209], v[231:232], s[40:41]
	v_add_f64 v[36:37], v[108:109], -v[36:37]
	v_add_f64 v[22:23], v[38:39], v[22:23]
	v_mul_f64 v[38:39], v[245:246], s[54:55]
	v_mul_f64 v[108:109], v[235:236], s[10:11]
	;; [unrolled: 1-line block ×3, first 2 shown]
	v_add_f64 v[22:23], v[36:37], v[22:23]
	s_waitcnt vmcnt(0)
	v_add_f64 v[40:41], v[44:45], -v[40:41]
	buffer_load_dword v44, off, s[64:67], 0 offset:864 ; 4-byte Folded Reload
	buffer_load_dword v45, off, s[64:67], 0 offset:868 ; 4-byte Folded Reload
	;; [unrolled: 1-line block ×4, first 2 shown]
	v_add_f64 v[40:41], v[130:131], v[40:41]
	s_waitcnt vmcnt(2)
	v_add_f64 v[158:159], v[158:159], v[44:45]
	buffer_load_dword v44, off, s[64:67], 0 offset:840 ; 4-byte Folded Reload
	buffer_load_dword v45, off, s[64:67], 0 offset:844 ; 4-byte Folded Reload
	;; [unrolled: 1-line block ×4, first 2 shown]
	s_waitcnt vmcnt(4)
	v_add_f64 v[162:163], v[162:163], v[204:205]
	v_mul_f64 v[204:205], v[231:232], s[28:29]
	v_add_f64 v[42:43], v[158:159], v[42:43]
	v_mul_f64 v[158:159], v[249:250], s[36:37]
	;; [unrolled: 2-line block ×3, first 2 shown]
	v_mul_f64 v[237:238], v[245:246], s[50:51]
	v_add_f64 v[30:31], v[30:31], v[42:43]
	v_mul_f64 v[42:43], v[212:213], s[16:17]
	s_waitcnt vmcnt(2)
	v_add_f64 v[110:111], v[44:45], -v[110:111]
	s_waitcnt vmcnt(0)
	v_add_f64 v[200:201], v[215:216], -v[200:201]
	v_mul_f64 v[215:216], v[247:248], s[38:39]
	v_add_f64 v[40:41], v[110:111], v[40:41]
	buffer_load_dword v110, off, s[64:67], 0 offset:320 ; 4-byte Folded Reload
	buffer_load_dword v111, off, s[64:67], 0 offset:324 ; 4-byte Folded Reload
	buffer_load_dword v229, off, s[64:67], 0 offset:376 ; 4-byte Folded Reload
	buffer_load_dword v230, off, s[64:67], 0 offset:380 ; 4-byte Folded Reload
	buffer_load_dword v231, off, s[64:67], 0 offset:368 ; 4-byte Folded Reload
	buffer_load_dword v232, off, s[64:67], 0 offset:372 ; 4-byte Folded Reload
	v_add_f64 v[40:41], v[200:201], v[40:41]
	v_mul_f64 v[200:201], v[212:213], s[38:39]
	v_mul_f64 v[212:213], v[212:213], s[20:21]
	s_waitcnt vmcnt(4)
	v_add_f64 v[110:111], v[110:111], -v[208:209]
	s_waitcnt vmcnt(2)
	v_add_f64 v[219:220], v[219:220], v[229:230]
	s_waitcnt vmcnt(0)
	v_add_f64 v[217:218], v[231:232], -v[217:218]
	v_mul_f64 v[229:230], v[221:222], s[54:55]
	v_mul_f64 v[221:222], v[221:222], s[56:57]
	;; [unrolled: 1-line block ×5, first 2 shown]
	v_add_f64 v[40:41], v[110:111], v[40:41]
	buffer_load_dword v110, off, s[64:67], 0 offset:416 ; 4-byte Folded Reload
	buffer_load_dword v111, off, s[64:67], 0 offset:420 ; 4-byte Folded Reload
	buffer_load_dword v12, off, s[64:67], 0 offset:504 ; 4-byte Folded Reload
	buffer_load_dword v13, off, s[64:67], 0 offset:508 ; 4-byte Folded Reload
	v_add_f64 v[40:41], v[217:218], v[40:41]
	s_waitcnt vmcnt(2)
	v_add_f64 v[225:226], v[110:111], -v[225:226]
	v_add_f64 v[110:111], v[20:21], v[14:15]
	buffer_load_dword v14, off, s[64:67], 0 offset:424 ; 4-byte Folded Reload
	buffer_load_dword v15, off, s[64:67], 0 offset:428 ; 4-byte Folded Reload
	v_add_f64 v[20:21], v[219:220], v[30:31]
	buffer_load_dword v30, off, s[64:67], 0 offset:472 ; 4-byte Folded Reload
	buffer_load_dword v31, off, s[64:67], 0 offset:476 ; 4-byte Folded Reload
	s_waitcnt vmcnt(4)
	v_add_f64 v[12:13], v[12:13], -v[38:39]
	buffer_load_dword v38, off, s[64:67], 0 offset:496 ; 4-byte Folded Reload
	buffer_load_dword v39, off, s[64:67], 0 offset:500 ; 4-byte Folded Reload
	v_add_f64 v[36:37], v[225:226], v[40:41]
	buffer_load_dword v40, off, s[64:67], 0 offset:456 ; 4-byte Folded Reload
	buffer_load_dword v41, off, s[64:67], 0 offset:460 ; 4-byte Folded Reload
	v_add_f64 v[114:115], v[12:13], v[22:23]
	s_waitcnt vmcnt(6)
	v_add_f64 v[14:15], v[227:228], v[14:15]
	s_waitcnt vmcnt(4)
	v_add_f64 v[30:31], v[30:31], -v[221:222]
	s_waitcnt vmcnt(2)
	v_add_f64 v[38:39], v[239:240], v[38:39]
	s_waitcnt vmcnt(0)
	v_add_f64 v[40:41], v[212:213], v[40:41]
	v_add_f64 v[14:15], v[14:15], v[20:21]
	buffer_load_dword v20, off, s[64:67], 0 offset:488 ; 4-byte Folded Reload
	buffer_load_dword v21, off, s[64:67], 0 offset:492 ; 4-byte Folded Reload
	buffer_load_dword v44, off, s[64:67], 0 offset:776 ; 4-byte Folded Reload
	buffer_load_dword v45, off, s[64:67], 0 offset:780 ; 4-byte Folded Reload
	v_add_f64 v[30:31], v[30:31], v[36:37]
	buffer_load_dword v36, off, s[64:67], 0 offset:520 ; 4-byte Folded Reload
	buffer_load_dword v37, off, s[64:67], 0 offset:524 ; 4-byte Folded Reload
	v_add_f64 v[14:15], v[40:41], v[14:15]
	s_waitcnt vmcnt(4)
	v_add_f64 v[20:21], v[20:21], -v[237:238]
	s_waitcnt vmcnt(2)
	v_add_f64 v[26:27], v[44:45], -v[26:27]
	s_waitcnt vmcnt(0)
	v_add_f64 v[24:25], v[24:25], v[36:37]
	buffer_load_dword v36, off, s[64:67], 0 offset:768 ; 4-byte Folded Reload
	buffer_load_dword v37, off, s[64:67], 0 offset:772 ; 4-byte Folded Reload
	v_add_f64 v[118:119], v[20:21], v[30:31]
	v_add_f64 v[26:27], v[130:131], v[26:27]
	;; [unrolled: 1-line block ×3, first 2 shown]
	s_waitcnt vmcnt(0)
	v_add_f64 v[28:29], v[28:29], v[36:37]
	buffer_load_dword v36, off, s[64:67], 0 offset:800 ; 4-byte Folded Reload
	buffer_load_dword v37, off, s[64:67], 0 offset:804 ; 4-byte Folded Reload
	v_add_f64 v[28:29], v[128:129], v[28:29]
	s_waitcnt vmcnt(0)
	v_add_f64 v[34:35], v[34:35], v[36:37]
	buffer_load_dword v36, off, s[64:67], 0 offset:792 ; 4-byte Folded Reload
	buffer_load_dword v37, off, s[64:67], 0 offset:796 ; 4-byte Folded Reload
	;; [unrolled: 1-line block ×4, first 2 shown]
	v_add_f64 v[28:29], v[34:35], v[28:29]
	s_waitcnt vmcnt(2)
	v_add_f64 v[36:37], v[36:37], -v[156:157]
	s_waitcnt vmcnt(0)
	v_add_f64 v[108:109], v[108:109], v[44:45]
	buffer_load_dword v44, off, s[64:67], 0 offset:824 ; 4-byte Folded Reload
	buffer_load_dword v45, off, s[64:67], 0 offset:828 ; 4-byte Folded Reload
	v_add_f64 v[26:27], v[36:37], v[26:27]
	v_add_f64 v[24:25], v[108:109], v[24:25]
	s_waitcnt vmcnt(0)
	v_add_f64 v[128:129], v[178:179], v[44:45]
	buffer_load_dword v44, off, s[64:67], 0 offset:816 ; 4-byte Folded Reload
	buffer_load_dword v45, off, s[64:67], 0 offset:820 ; 4-byte Folded Reload
	;; [unrolled: 1-line block ×8, first 2 shown]
	v_add_f64 v[28:29], v[128:129], v[28:29]
	s_waitcnt vmcnt(6)
	v_add_f64 v[130:131], v[44:45], -v[176:177]
	s_waitcnt vmcnt(4)
	v_add_f64 v[36:37], v[160:161], v[36:37]
	s_waitcnt vmcnt(2)
	v_add_f64 v[34:35], v[206:207], v[34:35]
	s_waitcnt vmcnt(0)
	v_add_f64 v[108:109], v[108:109], -v[204:205]
	v_add_f64 v[26:27], v[130:131], v[26:27]
	buffer_load_dword v130, off, s[64:67], 0 offset:248 ; 4-byte Folded Reload
	buffer_load_dword v131, off, s[64:67], 0 offset:252 ; 4-byte Folded Reload
	v_add_f64 v[24:25], v[36:37], v[24:25]
	buffer_load_dword v36, off, s[64:67], 0 offset:312 ; 4-byte Folded Reload
	buffer_load_dword v37, off, s[64:67], 0 offset:316 ; 4-byte Folded Reload
	;; [unrolled: 1-line block ×4, first 2 shown]
	v_add_f64 v[28:29], v[34:35], v[28:29]
	v_add_f64 v[26:27], v[108:109], v[26:27]
	buffer_load_dword v108, off, s[64:67], 0 offset:296 ; 4-byte Folded Reload
	buffer_load_dword v109, off, s[64:67], 0 offset:300 ; 4-byte Folded Reload
	;; [unrolled: 1-line block ×4, first 2 shown]
	s_waitcnt vmcnt(8)
	v_add_f64 v[130:131], v[202:203], v[130:131]
	s_waitcnt vmcnt(6)
	v_add_f64 v[36:37], v[215:216], v[36:37]
	s_waitcnt vmcnt(4)
	v_add_f64 v[128:129], v[128:129], -v[158:159]
	v_add_f64 v[24:25], v[130:131], v[24:25]
	buffer_load_dword v130, off, s[64:67], 0 offset:344 ; 4-byte Folded Reload
	buffer_load_dword v131, off, s[64:67], 0 offset:348 ; 4-byte Folded Reload
	v_add_f64 v[28:29], v[36:37], v[28:29]
	v_add_f64 v[26:27], v[128:129], v[26:27]
	buffer_load_dword v128, off, s[64:67], 0 offset:336 ; 4-byte Folded Reload
	buffer_load_dword v129, off, s[64:67], 0 offset:340 ; 4-byte Folded Reload
	;; [unrolled: 1-line block ×4, first 2 shown]
	s_waitcnt vmcnt(8)
	v_add_f64 v[108:109], v[210:211], v[108:109]
	s_waitcnt vmcnt(6)
	v_add_f64 v[34:35], v[208:209], v[34:35]
	v_add_f64 v[24:25], v[108:109], v[24:25]
	;; [unrolled: 1-line block ×3, first 2 shown]
	s_waitcnt vmcnt(4)
	v_add_f64 v[130:131], v[130:131], -v[162:163]
	s_waitcnt vmcnt(2)
	v_add_f64 v[128:129], v[223:224], v[128:129]
	s_waitcnt vmcnt(0)
	v_add_f64 v[36:37], v[42:43], v[36:37]
	buffer_load_dword v42, off, s[64:67], 0 offset:400 ; 4-byte Folded Reload
	buffer_load_dword v43, off, s[64:67], 0 offset:404 ; 4-byte Folded Reload
	;; [unrolled: 1-line block ×6, first 2 shown]
	v_add_f64 v[26:27], v[130:131], v[26:27]
	buffer_load_dword v112, off, s[64:67], 0 offset:448 ; 4-byte Folded Reload
	buffer_load_dword v113, off, s[64:67], 0 offset:452 ; 4-byte Folded Reload
	v_add_f64 v[24:25], v[128:129], v[24:25]
	v_add_f64 v[28:29], v[36:37], v[28:29]
	s_waitcnt vmcnt(6)
	v_add_f64 v[42:43], v[42:43], -v[229:230]
	s_waitcnt vmcnt(4)
	v_add_f64 v[108:109], v[200:201], v[108:109]
	s_waitcnt vmcnt(2)
	v_add_f64 v[34:35], v[235:236], v[34:35]
	s_waitcnt vmcnt(0)
	v_add_f64 v[112:113], v[112:113], -v[233:234]
	v_add_f64 v[26:27], v[42:43], v[26:27]
	buffer_load_dword v42, off, s[64:67], 0 offset:440 ; 4-byte Folded Reload
	buffer_load_dword v43, off, s[64:67], 0 offset:444 ; 4-byte Folded Reload
	buffer_load_dword v8, off, s[64:67], 0  ; 4-byte Folded Reload
	buffer_load_dword v9, off, s[64:67], 0 offset:12 ; 4-byte Folded Reload
	v_add_f64 v[24:25], v[108:109], v[24:25]
	v_add_f64 v[116:117], v[34:35], v[28:29]
	;; [unrolled: 1-line block ×5, first 2 shown]
	s_waitcnt vmcnt(2)
	v_add_f64 v[42:43], v[231:232], v[42:43]
	s_waitcnt vmcnt(1)
	v_mul_lo_u16_e32 v8, 17, v8
	s_waitcnt vmcnt(0)
	v_lshl_add_u32 v8, v8, 4, v9
	v_add_f64 v[120:121], v[42:43], v[24:25]
	ds_write_b128 v8, v[124:127]
	ds_write_b128 v8, v[120:123] offset:16
	ds_write_b128 v8, v[116:119] offset:32
	;; [unrolled: 1-line block ×7, first 2 shown]
	buffer_load_dword v0, off, s[64:67], 0 offset:752 ; 4-byte Folded Reload
	buffer_load_dword v1, off, s[64:67], 0 offset:756 ; 4-byte Folded Reload
	;; [unrolled: 1-line block ×4, first 2 shown]
	s_waitcnt vmcnt(0)
	ds_write_b128 v8, v[0:3] offset:128
	buffer_load_dword v0, off, s[64:67], 0 offset:736 ; 4-byte Folded Reload
	buffer_load_dword v1, off, s[64:67], 0 offset:740 ; 4-byte Folded Reload
	;; [unrolled: 1-line block ×4, first 2 shown]
	s_waitcnt vmcnt(0)
	ds_write_b128 v8, v[0:3] offset:144
	ds_write_b128 v8, v[172:175] offset:160
	;; [unrolled: 1-line block ×8, first 2 shown]
.LBB0_17:
	s_or_b64 exec, exec, s[58:59]
	s_waitcnt lgkmcnt(0)
	s_barrier
	ds_read_b128 v[120:123], v214
	ds_read_b128 v[112:115], v214 offset:1632
	ds_read_b128 v[152:155], v214 offset:3536
	;; [unrolled: 1-line block ×11, first 2 shown]
	s_and_saveexec_b64 s[8:9], s[2:3]
	s_cbranch_execz .LBB0_19
; %bb.18:
	ds_read_b128 v[192:195], v214 offset:3264
	ds_read_b128 v[196:199], v214 offset:6800
	;; [unrolled: 1-line block ×6, first 2 shown]
	s_waitcnt lgkmcnt(0)
	buffer_store_dword v0, off, s[64:67], 0 offset:16 ; 4-byte Folded Spill
	s_nop 0
	buffer_store_dword v1, off, s[64:67], 0 offset:20 ; 4-byte Folded Spill
	buffer_store_dword v2, off, s[64:67], 0 offset:24 ; 4-byte Folded Spill
	buffer_store_dword v3, off, s[64:67], 0 offset:28 ; 4-byte Folded Spill
.LBB0_19:
	s_or_b64 exec, exec, s[8:9]
	buffer_load_dword v12, off, s[64:67], 0 offset:104 ; 4-byte Folded Reload
	buffer_load_dword v13, off, s[64:67], 0 offset:108 ; 4-byte Folded Reload
	;; [unrolled: 1-line block ×8, first 2 shown]
	s_waitcnt lgkmcnt(8)
	v_mul_f64 v[20:21], v[78:79], v[138:139]
	s_waitcnt lgkmcnt(1)
	v_mul_f64 v[18:19], v[82:83], v[140:141]
	v_mul_f64 v[0:1], v[50:51], v[154:155]
	;; [unrolled: 1-line block ×5, first 2 shown]
	s_mov_b32 s8, 0xe8584caa
	s_mov_b32 s9, 0xbfebb67a
	v_fma_f64 v[30:31], v[76:77], v[136:137], v[20:21]
	v_fma_f64 v[18:19], v[80:81], v[142:143], -v[18:19]
	v_mul_f64 v[20:21], v[66:67], v[132:133]
	v_fma_f64 v[0:1], v[48:49], v[152:153], v[0:1]
	v_fma_f64 v[2:3], v[48:49], v[154:155], -v[2:3]
	v_fma_f64 v[16:17], v[80:81], v[140:141], v[16:17]
	v_fma_f64 v[50:51], v[52:53], v[126:127], -v[28:29]
	s_mov_b32 s11, 0x3febb67a
	s_mov_b32 s10, s8
	v_fma_f64 v[38:39], v[64:65], v[134:135], -v[20:21]
	s_waitcnt vmcnt(4)
	v_mul_f64 v[4:5], v[14:15], v[158:159]
	s_waitcnt vmcnt(0)
	v_mul_f64 v[8:9], v[24:25], v[150:151]
	v_mul_f64 v[10:11], v[24:25], v[148:149]
	buffer_load_dword v24, off, s[64:67], 0 offset:56 ; 4-byte Folded Reload
	buffer_load_dword v25, off, s[64:67], 0 offset:60 ; 4-byte Folded Reload
	buffer_load_dword v26, off, s[64:67], 0 offset:64 ; 4-byte Folded Reload
	buffer_load_dword v27, off, s[64:67], 0 offset:68 ; 4-byte Folded Reload
	v_mul_f64 v[6:7], v[14:15], v[156:157]
	v_fma_f64 v[4:5], v[12:13], v[156:157], v[4:5]
	v_fma_f64 v[8:9], v[22:23], v[148:149], v[8:9]
	v_fma_f64 v[10:11], v[22:23], v[150:151], -v[10:11]
	v_mul_f64 v[22:23], v[78:79], v[136:137]
	v_fma_f64 v[6:7], v[12:13], v[158:159], -v[6:7]
	v_fma_f64 v[32:33], v[76:77], v[138:139], -v[22:23]
	buffer_load_dword v76, off, s[64:67], 0 offset:40 ; 4-byte Folded Reload
	buffer_load_dword v77, off, s[64:67], 0 offset:44 ; 4-byte Folded Reload
	;; [unrolled: 1-line block ×4, first 2 shown]
	v_mul_f64 v[22:23], v[58:59], v[130:131]
	s_waitcnt vmcnt(0) lgkmcnt(0)
	s_barrier
	v_fma_f64 v[40:41], v[56:57], v[128:129], v[22:23]
	v_add_f64 v[22:23], v[120:121], v[4:5]
	v_mul_f64 v[12:13], v[26:27], v[146:147]
	v_mul_f64 v[14:15], v[26:27], v[144:145]
	;; [unrolled: 1-line block ×3, first 2 shown]
	v_fma_f64 v[12:13], v[24:25], v[144:145], v[12:13]
	v_fma_f64 v[14:15], v[24:25], v[146:147], -v[14:15]
	v_mul_f64 v[24:25], v[66:67], v[134:135]
	v_fma_f64 v[42:43], v[56:57], v[130:131], -v[26:27]
	v_add_f64 v[20:21], v[4:5], v[12:13]
	v_mul_f64 v[36:37], v[78:79], v[118:119]
	v_fma_f64 v[34:35], v[64:65], v[132:133], v[24:25]
	v_mul_f64 v[24:25], v[54:55], v[126:127]
	v_add_f64 v[26:27], v[6:7], -v[14:15]
	v_add_f64 v[54:55], v[8:9], -v[16:17]
	v_add_f64 v[58:59], v[6:7], v[14:15]
	v_add_f64 v[64:65], v[10:11], -v[18:19]
	v_fma_f64 v[20:21], v[20:21], -0.5, v[120:121]
	v_add_f64 v[6:7], v[122:123], v[6:7]
	v_mul_f64 v[28:29], v[78:79], v[116:117]
	v_fma_f64 v[48:49], v[52:53], v[124:125], v[24:25]
	v_add_f64 v[24:25], v[10:11], v[18:19]
	v_fma_f64 v[52:53], v[76:77], v[116:117], v[36:37]
	v_add_f64 v[36:37], v[22:23], v[12:13]
	v_add_f64 v[22:23], v[8:9], v[16:17]
	v_fma_f64 v[56:57], v[26:27], s[8:9], v[20:21]
	v_fma_f64 v[26:27], v[26:27], s[10:11], v[20:21]
	v_add_f64 v[4:5], v[4:5], -v[12:13]
	v_fma_f64 v[24:25], v[24:25], -0.5, v[2:3]
	v_add_f64 v[2:3], v[2:3], v[10:11]
	v_add_f64 v[10:11], v[6:7], v[14:15]
	v_fma_f64 v[22:23], v[22:23], -0.5, v[0:1]
	v_add_f64 v[0:1], v[0:1], v[8:9]
	v_fma_f64 v[20:21], v[54:55], s[10:11], v[24:25]
	v_fma_f64 v[24:25], v[54:55], s[8:9], v[24:25]
	v_fma_f64 v[54:55], v[58:59], -0.5, v[122:123]
	v_fma_f64 v[12:13], v[64:65], s[10:11], v[22:23]
	v_fma_f64 v[8:9], v[64:65], s[8:9], v[22:23]
	v_add_f64 v[16:17], v[0:1], v[16:17]
	v_add_f64 v[18:19], v[2:3], v[18:19]
	v_mul_f64 v[22:23], v[20:21], s[8:9]
	v_mul_f64 v[58:59], v[24:25], s[8:9]
	v_mul_f64 v[14:15], v[24:25], -0.5
	v_mul_f64 v[6:7], v[20:21], 0.5
	v_fma_f64 v[64:65], v[4:5], s[10:11], v[54:55]
	v_add_f64 v[0:1], v[36:37], v[16:17]
	v_add_f64 v[24:25], v[36:37], -v[16:17]
	v_fma_f64 v[54:55], v[4:5], s[8:9], v[54:55]
	v_fma_f64 v[66:67], v[8:9], 0.5, v[22:23]
	v_fma_f64 v[58:59], v[12:13], -0.5, v[58:59]
	v_fma_f64 v[12:13], v[12:13], s[10:11], v[14:15]
	v_fma_f64 v[14:15], v[76:77], v[118:119], -v[28:29]
	v_add_f64 v[76:77], v[34:35], v[48:49]
	v_fma_f64 v[8:9], v[8:9], s[10:11], v[6:7]
	v_add_f64 v[2:3], v[10:11], v[18:19]
	v_add_f64 v[4:5], v[56:57], v[66:67]
	;; [unrolled: 1-line block ×3, first 2 shown]
	v_add_f64 v[36:37], v[26:27], -v[58:59]
	v_add_f64 v[16:17], v[42:43], v[14:15]
	v_fma_f64 v[58:59], v[76:77], -0.5, v[112:113]
	v_add_f64 v[76:77], v[40:41], v[52:53]
	v_add_f64 v[28:29], v[56:57], -v[66:67]
	v_add_f64 v[56:57], v[112:113], v[34:35]
	v_add_f64 v[80:81], v[42:43], -v[14:15]
	;; [unrolled: 2-line block ×3, first 2 shown]
	v_fma_f64 v[10:11], v[16:17], -0.5, v[32:33]
	v_add_f64 v[16:17], v[40:41], -v[52:53]
	v_fma_f64 v[76:77], v[76:77], -0.5, v[30:31]
	v_add_f64 v[30:31], v[30:31], v[40:41]
	v_add_f64 v[18:19], v[56:57], v[48:49]
	v_add_f64 v[34:35], v[34:35], -v[48:49]
	v_add_f64 v[66:67], v[38:39], -v[50:51]
	v_add_f64 v[56:57], v[114:115], v[38:39]
	v_add_f64 v[38:39], v[38:39], v[50:51]
	;; [unrolled: 1-line block ×3, first 2 shown]
	v_fma_f64 v[40:41], v[80:81], s[8:9], v[76:77]
	v_fma_f64 v[48:49], v[80:81], s[10:11], v[76:77]
	v_add_f64 v[76:77], v[30:31], v[52:53]
	v_add_f64 v[30:31], v[64:65], -v[8:9]
	buffer_load_dword v8, off, s[64:67], 0 offset:136 ; 4-byte Folded Reload
	v_fma_f64 v[78:79], v[66:67], s[8:9], v[58:59]
	v_fma_f64 v[38:39], v[38:39], -0.5, v[114:115]
	v_fma_f64 v[66:67], v[66:67], s[10:11], v[58:59]
	v_fma_f64 v[58:59], v[16:17], s[10:11], v[10:11]
	;; [unrolled: 1-line block ×3, first 2 shown]
	v_add_f64 v[32:33], v[32:33], v[42:43]
	v_add_f64 v[16:17], v[56:57], v[50:51]
	v_add_f64 v[64:65], v[18:19], -v[76:77]
	v_fma_f64 v[82:83], v[34:35], s[10:11], v[38:39]
	v_fma_f64 v[34:35], v[34:35], s[8:9], v[38:39]
	v_add_f64 v[38:39], v[54:55], -v[12:13]
	v_mul_f64 v[50:51], v[58:59], s[8:9]
	v_mul_f64 v[42:43], v[58:59], 0.5
	v_mul_f64 v[56:57], v[10:11], s[8:9]
	v_mul_f64 v[10:11], v[10:11], -0.5
	v_add_f64 v[14:15], v[32:33], v[14:15]
	s_waitcnt vmcnt(0)
	ds_write_b128 v8, v[0:3]
	ds_write_b128 v8, v[4:7] offset:272
	ds_write_b128 v8, v[20:23] offset:544
	;; [unrolled: 1-line block ×5, first 2 shown]
	buffer_load_dword v0, off, s[64:67], 0 offset:144 ; 4-byte Folded Reload
	v_fma_f64 v[80:81], v[40:41], 0.5, v[50:51]
	v_fma_f64 v[32:33], v[40:41], s[10:11], v[42:43]
	v_fma_f64 v[108:109], v[48:49], -0.5, v[56:57]
	v_fma_f64 v[10:11], v[48:49], s[10:11], v[10:11]
	v_add_f64 v[48:49], v[18:19], v[76:77]
	v_add_f64 v[50:51], v[16:17], v[14:15]
	;; [unrolled: 1-line block ×6, first 2 shown]
	v_add_f64 v[76:77], v[78:79], -v[80:81]
	v_add_f64 v[80:81], v[66:67], -v[108:109]
	;; [unrolled: 1-line block ×5, first 2 shown]
	s_waitcnt vmcnt(0)
	ds_write_b128 v0, v[48:51]
	ds_write_b128 v0, v[52:55] offset:272
	ds_write_b128 v0, v[56:59] offset:544
	;; [unrolled: 1-line block ×5, first 2 shown]
	s_and_saveexec_b64 s[16:17], s[2:3]
	s_cbranch_execz .LBB0_21
; %bb.20:
	buffer_load_dword v30, off, s[64:67], 0 offset:216 ; 4-byte Folded Reload
	buffer_load_dword v31, off, s[64:67], 0 offset:220 ; 4-byte Folded Reload
	;; [unrolled: 1-line block ×20, first 2 shown]
	s_waitcnt vmcnt(16)
	v_mul_f64 v[0:1], v[32:33], v[188:189]
	s_waitcnt vmcnt(12)
	v_mul_f64 v[2:3], v[22:23], v[180:181]
	v_mul_f64 v[10:11], v[22:23], v[182:183]
	buffer_load_dword v22, off, s[64:67], 0 offset:168 ; 4-byte Folded Reload
	buffer_load_dword v23, off, s[64:67], 0 offset:172 ; 4-byte Folded Reload
	;; [unrolled: 1-line block ×4, first 2 shown]
	s_waitcnt vmcnt(10)
	v_mul_f64 v[4:5], v[36:37], v[38:39]
	s_waitcnt vmcnt(8)
	v_mul_f64 v[12:13], v[36:37], v[40:41]
	;; [unrolled: 2-line block ×3, first 2 shown]
	v_mul_f64 v[8:9], v[32:33], v[190:191]
	v_mul_f64 v[16:17], v[28:29], v[186:187]
	v_fma_f64 v[2:3], v[20:21], v[182:183], -v[2:3]
	v_fma_f64 v[10:11], v[20:21], v[180:181], v[10:11]
	v_fma_f64 v[0:1], v[30:31], v[190:191], -v[0:1]
	v_fma_f64 v[4:5], v[34:35], v[40:41], -v[4:5]
	v_fma_f64 v[12:13], v[34:35], v[38:39], v[12:13]
	v_fma_f64 v[6:7], v[26:27], v[186:187], -v[6:7]
	v_fma_f64 v[8:9], v[30:31], v[188:189], v[8:9]
	v_fma_f64 v[16:17], v[26:27], v[184:185], v[16:17]
	v_add_f64 v[32:33], v[194:195], v[0:1]
	v_add_f64 v[20:21], v[2:3], v[4:5]
	v_add_f64 v[26:27], v[10:11], -v[12:13]
	v_add_f64 v[30:31], v[2:3], -v[4:5]
	;; [unrolled: 1-line block ×3, first 2 shown]
	s_waitcnt vmcnt(0)
	v_mul_f64 v[14:15], v[24:25], v[196:197]
	v_mul_f64 v[18:19], v[24:25], v[198:199]
	v_add_f64 v[24:25], v[10:11], v[12:13]
	v_fma_f64 v[14:15], v[22:23], v[198:199], -v[14:15]
	v_fma_f64 v[18:19], v[22:23], v[196:197], v[18:19]
	v_add_f64 v[22:23], v[0:1], v[6:7]
	v_add_f64 v[0:1], v[0:1], -v[6:7]
	v_fma_f64 v[20:21], v[20:21], -0.5, v[14:15]
	v_add_f64 v[2:3], v[14:15], v[2:3]
	v_add_f64 v[14:15], v[8:9], v[16:17]
	v_fma_f64 v[24:25], v[24:25], -0.5, v[18:19]
	v_add_f64 v[10:11], v[18:19], v[10:11]
	v_fma_f64 v[18:19], v[22:23], -0.5, v[194:195]
	v_add_f64 v[22:23], v[32:33], v[6:7]
	v_add_f64 v[8:9], v[192:193], v[8:9]
	v_fma_f64 v[34:35], v[26:27], s[8:9], v[20:21]
	v_fma_f64 v[20:21], v[26:27], s[10:11], v[20:21]
	v_add_f64 v[4:5], v[2:3], v[4:5]
	v_fma_f64 v[6:7], v[30:31], s[10:11], v[24:25]
	v_fma_f64 v[24:25], v[30:31], s[8:9], v[24:25]
	v_fma_f64 v[2:3], v[14:15], -0.5, v[192:193]
	v_fma_f64 v[14:15], v[28:29], s[8:9], v[18:19]
	v_fma_f64 v[18:19], v[28:29], s[10:11], v[18:19]
	v_mul_f64 v[26:27], v[34:35], -0.5
	v_mul_f64 v[30:31], v[20:21], 0.5
	v_mul_f64 v[20:21], v[20:21], s[8:9]
	v_mul_f64 v[28:29], v[34:35], s[8:9]
	v_add_f64 v[8:9], v[8:9], v[16:17]
	v_fma_f64 v[34:35], v[0:1], s[10:11], v[2:3]
	v_fma_f64 v[0:1], v[0:1], s[8:9], v[2:3]
	v_add_f64 v[32:33], v[10:11], v[12:13]
	v_add_f64 v[10:11], v[22:23], -v[4:5]
	v_fma_f64 v[30:31], v[24:25], s[10:11], v[30:31]
	v_fma_f64 v[24:25], v[24:25], 0.5, v[20:21]
	v_add_f64 v[22:23], v[22:23], v[4:5]
	v_fma_f64 v[26:27], v[6:7], s[10:11], v[26:27]
	v_fma_f64 v[28:29], v[6:7], -0.5, v[28:29]
	v_add_f64 v[20:21], v[8:9], v[32:33]
	v_add_f64 v[8:9], v[8:9], -v[32:33]
	v_add_f64 v[6:7], v[18:19], -v[30:31]
	v_add_f64 v[16:17], v[0:1], v[24:25]
	v_add_f64 v[4:5], v[0:1], -v[24:25]
	buffer_load_dword v24, off, s[64:67], 0 offset:12 ; 4-byte Folded Reload
	buffer_load_dword v25, off, s[64:67], 0 offset:32 ; 4-byte Folded Reload
	v_add_f64 v[18:19], v[18:19], v[30:31]
	v_add_f64 v[2:3], v[14:15], -v[26:27]
	v_add_f64 v[14:15], v[14:15], v[26:27]
	v_add_f64 v[12:13], v[34:35], v[28:29]
	v_add_f64 v[0:1], v[34:35], -v[28:29]
	s_waitcnt vmcnt(0)
	v_lshl_add_u32 v24, v25, 4, v24
	ds_write_b128 v24, v[20:23] offset:19584
	ds_write_b128 v24, v[16:19] offset:19856
	;; [unrolled: 1-line block ×6, first 2 shown]
.LBB0_21:
	s_or_b64 exec, exec, s[16:17]
	s_waitcnt lgkmcnt(0)
	s_barrier
	ds_read_b128 v[0:3], v214 offset:1632
	ds_read_b128 v[4:7], v214 offset:3264
	ds_read_b128 v[20:23], v214
	ds_read_b128 v[8:11], v214 offset:4896
	s_mov_b32 s2, 0xe00740e9
	s_mov_b32 s3, 0x3fec55a7
	s_waitcnt lgkmcnt(2)
	v_mul_f64 v[16:17], v[102:103], v[6:7]
	v_mul_f64 v[12:13], v[106:107], v[2:3]
	;; [unrolled: 1-line block ×4, first 2 shown]
	s_waitcnt lgkmcnt(0)
	v_mul_f64 v[24:25], v[62:63], v[10:11]
	v_mul_f64 v[26:27], v[62:63], v[8:9]
	s_mov_b32 s10, 0x4267c47c
	s_mov_b32 s20, 0x42a4c3d2
	v_fma_f64 v[48:49], v[100:101], v[4:5], v[16:17]
	v_fma_f64 v[32:33], v[104:105], v[0:1], v[12:13]
	v_fma_f64 v[34:35], v[104:105], v[2:3], -v[14:15]
	ds_read_b128 v[0:3], v214 offset:6528
	ds_read_b128 v[12:15], v214 offset:8160
	v_fma_f64 v[50:51], v[100:101], v[6:7], -v[18:19]
	ds_read_b128 v[4:7], v214 offset:9792
	ds_read_b128 v[16:19], v214 offset:11424
	buffer_load_dword v40, off, s[64:67], 0 offset:120 ; 4-byte Folded Reload
	buffer_load_dword v41, off, s[64:67], 0 offset:124 ; 4-byte Folded Reload
	;; [unrolled: 1-line block ×4, first 2 shown]
	v_fma_f64 v[52:53], v[60:61], v[8:9], v[24:25]
	v_fma_f64 v[54:55], v[60:61], v[10:11], -v[26:27]
	v_add_f64 v[28:29], v[20:21], v[32:33]
	v_add_f64 v[30:31], v[22:23], v[34:35]
	s_waitcnt lgkmcnt(2)
	v_mul_f64 v[56:57], v[98:99], v[14:15]
	v_mul_f64 v[58:59], v[98:99], v[12:13]
	s_waitcnt lgkmcnt(1)
	v_mul_f64 v[64:65], v[70:71], v[6:7]
	v_mul_f64 v[66:67], v[70:71], v[4:5]
	s_mov_b32 s8, 0x66966769
	s_mov_b32 s26, 0x2ef20147
	v_add_f64 v[8:9], v[28:29], v[48:49]
	v_add_f64 v[10:11], v[30:31], v[50:51]
	ds_read_b128 v[24:27], v214 offset:13056
	ds_read_b128 v[28:31], v214 offset:14688
	v_fma_f64 v[12:13], v[96:97], v[12:13], v[56:57]
	v_fma_f64 v[14:15], v[96:97], v[14:15], -v[58:59]
	v_fma_f64 v[4:5], v[68:69], v[4:5], v[64:65]
	v_fma_f64 v[6:7], v[68:69], v[6:7], -v[66:67]
	s_mov_b32 s36, 0x24c2f84
	v_add_f64 v[8:9], v[8:9], v[52:53]
	v_add_f64 v[10:11], v[10:11], v[54:55]
	s_mov_b32 s38, 0xd0032e0c
	s_mov_b32 s42, 0x4bc48dbf
	;; [unrolled: 1-line block ×29, first 2 shown]
	s_waitcnt vmcnt(0)
	v_mul_f64 v[36:37], v[42:43], v[2:3]
	v_mul_f64 v[38:39], v[42:43], v[0:1]
	v_fma_f64 v[60:61], v[40:41], v[0:1], v[36:37]
	v_fma_f64 v[62:63], v[40:41], v[2:3], -v[38:39]
	ds_read_b128 v[0:3], v214 offset:16320
	ds_read_b128 v[36:39], v214 offset:17952
	;; [unrolled: 1-line block ×3, first 2 shown]
	buffer_load_dword v44, off, s[64:67], 0 offset:152 ; 4-byte Folded Reload
	buffer_load_dword v45, off, s[64:67], 0 offset:156 ; 4-byte Folded Reload
	;; [unrolled: 1-line block ×8, first 2 shown]
	s_waitcnt lgkmcnt(2)
	v_mul_f64 v[70:71], v[86:87], v[2:3]
	v_add_f64 v[8:9], v[8:9], v[60:61]
	v_add_f64 v[10:11], v[10:11], v[62:63]
	;; [unrolled: 1-line block ×4, first 2 shown]
	s_waitcnt vmcnt(4)
	v_mul_f64 v[56:57], v[46:47], v[18:19]
	v_mul_f64 v[46:47], v[46:47], v[16:17]
	s_waitcnt vmcnt(0)
	v_mul_f64 v[66:67], v[78:79], v[26:27]
	v_mul_f64 v[68:69], v[78:79], v[24:25]
	v_fma_f64 v[8:9], v[44:45], v[16:17], v[56:57]
	v_fma_f64 v[10:11], v[44:45], v[18:19], -v[46:47]
	v_add_f64 v[44:45], v[58:59], v[4:5]
	v_add_f64 v[46:47], v[64:65], v[6:7]
	v_mul_f64 v[56:57], v[94:95], v[30:31]
	v_mul_f64 v[58:59], v[94:95], v[28:29]
	s_waitcnt lgkmcnt(0)
	v_mul_f64 v[64:65], v[90:91], v[40:41]
	v_fma_f64 v[16:17], v[76:77], v[24:25], v[66:67]
	v_fma_f64 v[18:19], v[76:77], v[26:27], -v[68:69]
	v_add_f64 v[24:25], v[44:45], v[8:9]
	v_add_f64 v[26:27], v[46:47], v[10:11]
	v_mul_f64 v[44:45], v[90:91], v[42:43]
	v_mul_f64 v[46:47], v[86:87], v[0:1]
	v_fma_f64 v[42:43], v[88:89], v[42:43], -v[64:65]
	v_fma_f64 v[28:29], v[92:93], v[28:29], v[56:57]
	v_fma_f64 v[30:31], v[92:93], v[30:31], -v[58:59]
	v_mul_f64 v[64:65], v[74:75], v[38:39]
	v_add_f64 v[24:25], v[24:25], v[16:17]
	v_add_f64 v[26:27], v[26:27], v[18:19]
	v_fma_f64 v[40:41], v[88:89], v[40:41], v[44:45]
	v_mul_f64 v[44:45], v[74:75], v[36:37]
	v_add_f64 v[56:57], v[34:35], -v[42:43]
	v_add_f64 v[34:35], v[34:35], v[42:43]
	v_fma_f64 v[58:59], v[84:85], v[0:1], v[70:71]
	v_fma_f64 v[46:47], v[84:85], v[2:3], -v[46:47]
	v_add_f64 v[0:1], v[24:25], v[28:29]
	v_add_f64 v[2:3], v[26:27], v[30:31]
	v_add_f64 v[26:27], v[32:33], -v[40:41]
	v_fma_f64 v[36:37], v[72:73], v[36:37], v[64:65]
	v_fma_f64 v[38:39], v[72:73], v[38:39], -v[44:45]
	v_mul_f64 v[66:67], v[34:35], s[2:3]
	v_add_f64 v[24:25], v[32:33], v[40:41]
	v_mul_f64 v[32:33], v[56:57], s[10:11]
	v_add_f64 v[0:1], v[0:1], v[58:59]
	v_add_f64 v[2:3], v[2:3], v[46:47]
	v_mul_f64 v[68:69], v[56:57], s[20:21]
	v_mul_f64 v[70:71], v[56:57], s[8:9]
	;; [unrolled: 1-line block ×3, first 2 shown]
	v_fma_f64 v[64:65], v[26:27], s[28:29], v[66:67]
	v_fma_f64 v[66:67], v[26:27], s[10:11], v[66:67]
	v_mul_f64 v[86:87], v[56:57], s[36:37]
	v_add_f64 v[0:1], v[0:1], v[36:37]
	v_add_f64 v[2:3], v[2:3], v[38:39]
	v_mul_f64 v[88:89], v[34:35], s[38:39]
	v_mul_f64 v[56:57], v[56:57], s[42:43]
	v_add_f64 v[96:97], v[50:51], v[38:39]
	v_add_f64 v[38:39], v[50:51], -v[38:39]
	v_fma_f64 v[44:45], v[24:25], s[2:3], v[32:33]
	v_fma_f64 v[32:33], v[24:25], s[2:3], -v[32:33]
	v_add_f64 v[0:1], v[0:1], v[40:41]
	v_add_f64 v[2:3], v[2:3], v[42:43]
	;; [unrolled: 1-line block ×3, first 2 shown]
	v_fma_f64 v[42:43], v[24:25], s[22:23], v[68:69]
	v_mul_f64 v[66:67], v[34:35], s[22:23]
	v_mul_f64 v[72:73], v[34:35], s[16:17]
	v_fma_f64 v[68:69], v[24:25], s[22:23], -v[68:69]
	v_fma_f64 v[76:77], v[24:25], s[16:17], v[70:71]
	v_fma_f64 v[70:71], v[24:25], s[16:17], -v[70:71]
	v_fma_f64 v[82:83], v[24:25], s[30:31], v[80:81]
	v_mul_f64 v[84:85], v[34:35], s[30:31]
	v_fma_f64 v[80:81], v[24:25], s[30:31], -v[80:81]
	v_fma_f64 v[92:93], v[24:25], s[38:39], v[86:87]
	v_fma_f64 v[94:95], v[26:27], s[40:41], v[88:89]
	v_fma_f64 v[86:87], v[24:25], s[38:39], -v[86:87]
	v_fma_f64 v[88:89], v[26:27], s[36:37], v[88:89]
	v_mul_f64 v[34:35], v[34:35], s[44:45]
	v_fma_f64 v[50:51], v[24:25], s[44:45], v[56:57]
	v_add_f64 v[98:99], v[48:49], v[36:37]
	v_add_f64 v[36:37], v[48:49], -v[36:37]
	v_mul_f64 v[48:49], v[38:39], s[20:21]
	v_mul_f64 v[100:101], v[96:97], s[22:23]
	v_fma_f64 v[24:25], v[24:25], s[44:45], -v[56:57]
	v_add_f64 v[44:45], v[20:21], v[44:45]
	v_add_f64 v[64:65], v[22:23], v[64:65]
	;; [unrolled: 1-line block ×3, first 2 shown]
	v_fma_f64 v[74:75], v[26:27], s[24:25], v[66:67]
	v_add_f64 v[42:43], v[20:21], v[42:43]
	v_fma_f64 v[66:67], v[26:27], s[20:21], v[66:67]
	v_fma_f64 v[78:79], v[26:27], s[18:19], v[72:73]
	v_add_f64 v[68:69], v[20:21], v[68:69]
	v_add_f64 v[76:77], v[20:21], v[76:77]
	v_fma_f64 v[72:73], v[26:27], s[8:9], v[72:73]
	v_fma_f64 v[90:91], v[26:27], s[34:35], v[84:85]
	v_fma_f64 v[84:85], v[26:27], s[26:27], v[84:85]
	v_add_f64 v[70:71], v[20:21], v[70:71]
	v_add_f64 v[82:83], v[20:21], v[82:83]
	;; [unrolled: 1-line block ×4, first 2 shown]
	v_fma_f64 v[102:103], v[26:27], s[46:47], v[34:35]
	v_fma_f64 v[26:27], v[26:27], s[42:43], v[34:35]
	v_add_f64 v[34:35], v[20:21], v[86:87]
	v_add_f64 v[56:57], v[22:23], v[88:89]
	v_fma_f64 v[86:87], v[98:99], s[22:23], v[48:49]
	v_fma_f64 v[88:89], v[36:37], s[24:25], v[100:101]
	v_add_f64 v[50:51], v[20:21], v[50:51]
	v_add_f64 v[20:21], v[20:21], v[24:25]
	v_mul_f64 v[24:25], v[38:39], s[26:27]
	v_add_f64 v[74:75], v[22:23], v[74:75]
	v_add_f64 v[66:67], v[22:23], v[66:67]
	;; [unrolled: 1-line block ×9, first 2 shown]
	v_mul_f64 v[26:27], v[96:97], s[30:31]
	v_add_f64 v[44:45], v[86:87], v[44:45]
	v_add_f64 v[64:65], v[88:89], v[64:65]
	v_fma_f64 v[48:49], v[98:99], s[22:23], -v[48:49]
	v_fma_f64 v[86:87], v[36:37], s[20:21], v[100:101]
	v_mul_f64 v[88:89], v[38:39], s[42:43]
	v_mul_f64 v[100:101], v[96:97], s[44:45]
	v_fma_f64 v[104:105], v[98:99], s[30:31], v[24:25]
	v_fma_f64 v[24:25], v[98:99], s[30:31], -v[24:25]
	v_fma_f64 v[106:107], v[36:37], s[34:35], v[26:27]
	v_fma_f64 v[26:27], v[36:37], s[26:27], v[26:27]
	v_add_f64 v[32:33], v[48:49], v[32:33]
	v_add_f64 v[40:41], v[86:87], v[40:41]
	v_fma_f64 v[48:49], v[98:99], s[44:45], v[88:89]
	v_fma_f64 v[86:87], v[36:37], s[46:47], v[100:101]
	v_fma_f64 v[88:89], v[98:99], s[44:45], -v[88:89]
	v_add_f64 v[24:25], v[24:25], v[68:69]
	v_mul_f64 v[68:69], v[96:97], s[38:39]
	v_add_f64 v[74:75], v[106:107], v[74:75]
	v_add_f64 v[26:27], v[26:27], v[66:67]
	v_mul_f64 v[66:67], v[38:39], s[40:41]
	v_add_f64 v[48:49], v[48:49], v[76:77]
	v_add_f64 v[76:77], v[86:87], v[78:79]
	v_mul_f64 v[78:79], v[38:39], s[18:19]
	v_mul_f64 v[86:87], v[96:97], s[16:17]
	v_fma_f64 v[106:107], v[36:37], s[36:37], v[68:69]
	v_add_f64 v[42:43], v[104:105], v[42:43]
	v_fma_f64 v[68:69], v[36:37], s[40:41], v[68:69]
	v_fma_f64 v[104:105], v[98:99], s[38:39], v[66:67]
	v_fma_f64 v[66:67], v[98:99], s[38:39], -v[66:67]
	v_add_f64 v[70:71], v[88:89], v[70:71]
	v_fma_f64 v[108:109], v[98:99], s[16:17], v[78:79]
	v_fma_f64 v[110:111], v[36:37], s[8:9], v[86:87]
	v_add_f64 v[88:89], v[106:107], v[90:91]
	v_add_f64 v[90:91], v[54:55], -v[46:47]
	v_add_f64 v[46:47], v[54:55], v[46:47]
	v_fma_f64 v[100:101], v[36:37], s[42:43], v[100:101]
	v_add_f64 v[66:67], v[66:67], v[80:81]
	v_add_f64 v[68:69], v[68:69], v[84:85]
	;; [unrolled: 1-line block ×4, first 2 shown]
	v_mul_f64 v[54:55], v[96:97], s[2:3]
	v_fma_f64 v[78:79], v[98:99], s[16:17], -v[78:79]
	v_fma_f64 v[86:87], v[36:37], s[18:19], v[86:87]
	v_add_f64 v[92:93], v[52:53], v[58:59]
	v_add_f64 v[52:53], v[52:53], -v[58:59]
	v_mul_f64 v[58:59], v[90:91], s[8:9]
	v_mul_f64 v[94:95], v[46:47], s[16:17]
	v_add_f64 v[72:73], v[100:101], v[72:73]
	v_mul_f64 v[38:39], v[38:39], s[28:29]
	v_fma_f64 v[100:101], v[36:37], s[10:11], v[54:55]
	v_fma_f64 v[36:37], v[36:37], s[28:29], v[54:55]
	v_add_f64 v[34:35], v[78:79], v[34:35]
	v_add_f64 v[54:55], v[86:87], v[56:57]
	v_fma_f64 v[56:57], v[92:93], s[16:17], v[58:59]
	v_fma_f64 v[78:79], v[52:53], s[18:19], v[94:95]
	v_fma_f64 v[58:59], v[92:93], s[16:17], -v[58:59]
	v_fma_f64 v[96:97], v[98:99], s[2:3], v[38:39]
	v_fma_f64 v[38:39], v[98:99], s[2:3], -v[38:39]
	v_add_f64 v[22:23], v[36:37], v[22:23]
	v_mul_f64 v[36:37], v[90:91], s[42:43]
	v_add_f64 v[86:87], v[100:101], v[102:103]
	v_add_f64 v[44:45], v[56:57], v[44:45]
	;; [unrolled: 1-line block ×3, first 2 shown]
	v_fma_f64 v[64:65], v[52:53], s[8:9], v[94:95]
	v_mul_f64 v[78:79], v[90:91], s[34:35]
	v_mul_f64 v[94:95], v[46:47], s[30:31]
	v_add_f64 v[50:51], v[96:97], v[50:51]
	v_add_f64 v[20:21], v[38:39], v[20:21]
	v_mul_f64 v[38:39], v[46:47], s[44:45]
	v_fma_f64 v[96:97], v[92:93], s[44:45], v[36:37]
	v_fma_f64 v[36:37], v[92:93], s[44:45], -v[36:37]
	v_add_f64 v[32:33], v[58:59], v[32:33]
	v_add_f64 v[40:41], v[64:65], v[40:41]
	v_fma_f64 v[58:59], v[92:93], s[30:31], v[78:79]
	v_fma_f64 v[64:65], v[52:53], s[26:27], v[94:95]
	v_add_f64 v[82:83], v[104:105], v[82:83]
	v_fma_f64 v[98:99], v[52:53], s[46:47], v[38:39]
	v_fma_f64 v[38:39], v[52:53], s[42:43], v[38:39]
	v_add_f64 v[24:25], v[36:37], v[24:25]
	v_mul_f64 v[36:37], v[90:91], s[28:29]
	v_add_f64 v[42:43], v[96:97], v[42:43]
	v_add_f64 v[48:49], v[58:59], v[48:49]
	;; [unrolled: 1-line block ×3, first 2 shown]
	v_mul_f64 v[64:65], v[90:91], s[20:21]
	v_mul_f64 v[76:77], v[46:47], s[22:23]
	v_add_f64 v[26:27], v[38:39], v[26:27]
	v_mul_f64 v[38:39], v[46:47], s[2:3]
	v_fma_f64 v[96:97], v[92:93], s[2:3], v[36:37]
	v_fma_f64 v[36:37], v[92:93], s[2:3], -v[36:37]
	v_add_f64 v[74:75], v[98:99], v[74:75]
	v_fma_f64 v[78:79], v[92:93], s[30:31], -v[78:79]
	v_fma_f64 v[100:101], v[92:93], s[22:23], v[64:65]
	v_fma_f64 v[102:103], v[52:53], s[24:25], v[76:77]
	;; [unrolled: 1-line block ×5, first 2 shown]
	v_add_f64 v[36:37], v[36:37], v[66:67]
	v_mul_f64 v[46:47], v[46:47], s[38:39]
	v_add_f64 v[70:71], v[78:79], v[70:71]
	v_add_f64 v[66:67], v[100:101], v[80:81]
	v_add_f64 v[80:81], v[62:63], -v[30:31]
	v_add_f64 v[30:31], v[62:63], v[30:31]
	v_add_f64 v[78:79], v[96:97], v[82:83]
	;; [unrolled: 1-line block ×5, first 2 shown]
	v_mul_f64 v[62:63], v[90:91], s[36:37]
	v_fma_f64 v[64:65], v[92:93], s[22:23], -v[64:65]
	v_fma_f64 v[76:77], v[52:53], s[20:21], v[76:77]
	v_add_f64 v[84:85], v[60:61], v[28:29]
	v_add_f64 v[28:29], v[60:61], -v[28:29]
	v_mul_f64 v[60:61], v[80:81], s[26:27]
	v_mul_f64 v[88:89], v[30:31], s[30:31]
	v_add_f64 v[72:73], v[94:95], v[72:73]
	v_fma_f64 v[90:91], v[92:93], s[38:39], v[62:63]
	v_fma_f64 v[94:95], v[52:53], s[40:41], v[46:47]
	v_fma_f64 v[62:63], v[92:93], s[38:39], -v[62:63]
	v_fma_f64 v[46:47], v[52:53], s[36:37], v[46:47]
	v_add_f64 v[34:35], v[64:65], v[34:35]
	v_add_f64 v[52:53], v[76:77], v[54:55]
	v_fma_f64 v[54:55], v[84:85], s[30:31], v[60:61]
	v_fma_f64 v[64:65], v[28:29], s[34:35], v[88:89]
	v_add_f64 v[50:51], v[90:91], v[50:51]
	v_add_f64 v[76:77], v[94:95], v[86:87]
	;; [unrolled: 1-line block ×3, first 2 shown]
	v_mul_f64 v[62:63], v[30:31], s[38:39]
	v_mul_f64 v[86:87], v[30:31], s[2:3]
	v_add_f64 v[22:23], v[46:47], v[22:23]
	v_add_f64 v[44:45], v[54:55], v[44:45]
	;; [unrolled: 1-line block ×3, first 2 shown]
	v_fma_f64 v[56:57], v[84:85], s[30:31], -v[60:61]
	v_fma_f64 v[60:61], v[28:29], s[26:27], v[88:89]
	v_mul_f64 v[64:65], v[80:81], s[28:29]
	v_mul_f64 v[46:47], v[80:81], s[40:41]
	v_fma_f64 v[90:91], v[28:29], s[36:37], v[62:63]
	v_fma_f64 v[62:63], v[28:29], s[40:41], v[62:63]
	v_add_f64 v[32:33], v[56:57], v[32:33]
	v_add_f64 v[40:41], v[60:61], v[40:41]
	v_fma_f64 v[56:57], v[84:85], s[2:3], v[64:65]
	v_fma_f64 v[60:61], v[28:29], s[10:11], v[86:87]
	v_fma_f64 v[88:89], v[84:85], s[38:39], v[46:47]
	v_fma_f64 v[46:47], v[84:85], s[38:39], -v[46:47]
	v_add_f64 v[26:27], v[62:63], v[26:27]
	v_mul_f64 v[62:63], v[30:31], s[16:17]
	v_add_f64 v[74:75], v[90:91], v[74:75]
	v_add_f64 v[48:49], v[56:57], v[48:49]
	;; [unrolled: 1-line block ×3, first 2 shown]
	v_fma_f64 v[58:59], v[84:85], s[2:3], -v[64:65]
	v_fma_f64 v[60:61], v[28:29], s[28:29], v[86:87]
	v_mul_f64 v[64:65], v[80:81], s[46:47]
	v_mul_f64 v[86:87], v[30:31], s[44:45]
	v_add_f64 v[24:25], v[46:47], v[24:25]
	v_mul_f64 v[46:47], v[80:81], s[8:9]
	v_fma_f64 v[90:91], v[28:29], s[18:19], v[62:63]
	v_fma_f64 v[62:63], v[28:29], s[8:9], v[62:63]
	v_add_f64 v[58:59], v[58:59], v[70:71]
	v_add_f64 v[60:61], v[60:61], v[72:73]
	v_fma_f64 v[70:71], v[84:85], s[44:45], v[64:65]
	v_fma_f64 v[72:73], v[28:29], s[42:43], v[86:87]
	v_add_f64 v[42:43], v[88:89], v[42:43]
	v_fma_f64 v[88:89], v[84:85], s[16:17], v[46:47]
	v_fma_f64 v[46:47], v[84:85], s[16:17], -v[46:47]
	v_add_f64 v[38:39], v[62:63], v[38:39]
	v_mul_f64 v[30:31], v[30:31], s[22:23]
	v_add_f64 v[82:83], v[90:91], v[82:83]
	v_add_f64 v[62:63], v[70:71], v[66:67]
	v_add_f64 v[66:67], v[72:73], v[68:69]
	v_add_f64 v[68:69], v[14:15], -v[18:19]
	v_add_f64 v[14:15], v[14:15], v[18:19]
	v_add_f64 v[36:37], v[46:47], v[36:37]
	v_mul_f64 v[46:47], v[80:81], s[24:25]
	v_fma_f64 v[18:19], v[84:85], s[44:45], -v[64:65]
	v_fma_f64 v[64:65], v[28:29], s[46:47], v[86:87]
	v_add_f64 v[80:81], v[12:13], v[16:17]
	v_add_f64 v[12:13], v[12:13], -v[16:17]
	v_mul_f64 v[16:17], v[68:69], s[36:37]
	v_mul_f64 v[86:87], v[14:15], s[38:39]
	v_fma_f64 v[72:73], v[28:29], s[20:21], v[30:31]
	v_fma_f64 v[70:71], v[84:85], s[22:23], v[46:47]
	v_fma_f64 v[46:47], v[84:85], s[22:23], -v[46:47]
	v_fma_f64 v[28:29], v[28:29], s[24:25], v[30:31]
	v_add_f64 v[30:31], v[64:65], v[52:53]
	v_add_f64 v[18:19], v[18:19], v[34:35]
	v_fma_f64 v[52:53], v[80:81], s[38:39], v[16:17]
	v_fma_f64 v[64:65], v[12:13], s[40:41], v[86:87]
	v_fma_f64 v[16:17], v[80:81], s[38:39], -v[16:17]
	v_add_f64 v[34:35], v[70:71], v[50:51]
	v_add_f64 v[20:21], v[46:47], v[20:21]
	;; [unrolled: 1-line block ×3, first 2 shown]
	v_mul_f64 v[28:29], v[68:69], s[18:19]
	v_mul_f64 v[46:47], v[14:15], s[16:17]
	v_fma_f64 v[70:71], v[12:13], s[36:37], v[86:87]
	v_add_f64 v[44:45], v[52:53], v[44:45]
	v_add_f64 v[52:53], v[64:65], v[54:55]
	v_mul_f64 v[54:55], v[68:69], s[20:21]
	v_add_f64 v[50:51], v[72:73], v[76:77]
	v_mul_f64 v[64:65], v[14:15], s[22:23]
	v_fma_f64 v[72:73], v[80:81], s[16:17], v[28:29]
	v_fma_f64 v[76:77], v[12:13], s[8:9], v[46:47]
	v_add_f64 v[16:17], v[16:17], v[32:33]
	v_add_f64 v[32:33], v[70:71], v[40:41]
	v_fma_f64 v[28:29], v[80:81], s[16:17], -v[28:29]
	v_fma_f64 v[40:41], v[12:13], s[18:19], v[46:47]
	v_fma_f64 v[46:47], v[80:81], s[22:23], v[54:55]
	;; [unrolled: 1-line block ×3, first 2 shown]
	v_add_f64 v[42:43], v[72:73], v[42:43]
	v_add_f64 v[72:73], v[76:77], v[74:75]
	v_mul_f64 v[74:75], v[68:69], s[46:47]
	v_mul_f64 v[76:77], v[14:15], s[44:45]
	v_add_f64 v[24:25], v[28:29], v[24:25]
	v_add_f64 v[26:27], v[40:41], v[26:27]
	;; [unrolled: 1-line block ×3, first 2 shown]
	v_fma_f64 v[46:47], v[80:81], s[22:23], -v[54:55]
	v_fma_f64 v[48:49], v[12:13], s[20:21], v[64:65]
	v_mul_f64 v[64:65], v[68:69], s[28:29]
	v_add_f64 v[40:41], v[70:71], v[56:57]
	v_mul_f64 v[70:71], v[14:15], s[2:3]
	v_fma_f64 v[54:55], v[80:81], s[44:45], v[74:75]
	v_fma_f64 v[56:57], v[12:13], s[42:43], v[76:77]
	v_fma_f64 v[74:75], v[80:81], s[44:45], -v[74:75]
	v_add_f64 v[46:47], v[46:47], v[58:59]
	v_fma_f64 v[76:77], v[12:13], s[46:47], v[76:77]
	v_fma_f64 v[58:59], v[80:81], s[2:3], v[64:65]
	v_add_f64 v[48:49], v[48:49], v[60:61]
	v_fma_f64 v[60:61], v[12:13], s[10:11], v[70:71]
	v_mul_f64 v[68:69], v[68:69], s[26:27]
	v_fma_f64 v[64:65], v[80:81], s[2:3], -v[64:65]
	v_add_f64 v[36:37], v[74:75], v[36:37]
	v_fma_f64 v[70:71], v[12:13], s[28:29], v[70:71]
	v_add_f64 v[38:39], v[76:77], v[38:39]
	v_add_f64 v[58:59], v[58:59], v[62:63]
	v_add_f64 v[62:63], v[6:7], -v[10:11]
	v_mul_f64 v[14:15], v[14:15], s[30:31]
	v_add_f64 v[60:61], v[60:61], v[66:67]
	v_add_f64 v[66:67], v[6:7], v[10:11]
	v_fma_f64 v[6:7], v[80:81], s[30:31], v[68:69]
	v_add_f64 v[74:75], v[4:5], v[8:9]
	v_add_f64 v[76:77], v[4:5], -v[8:9]
	v_add_f64 v[78:79], v[88:89], v[78:79]
	v_mul_f64 v[4:5], v[62:63], s[42:43]
	v_add_f64 v[64:65], v[64:65], v[18:19]
	v_add_f64 v[70:71], v[70:71], v[30:31]
	v_fma_f64 v[10:11], v[12:13], s[34:35], v[14:15]
	v_mul_f64 v[8:9], v[66:67], s[44:45]
	v_fma_f64 v[18:19], v[80:81], s[30:31], -v[68:69]
	v_fma_f64 v[12:13], v[12:13], s[26:27], v[14:15]
	v_add_f64 v[68:69], v[6:7], v[34:35]
	v_mul_f64 v[30:31], v[62:63], s[28:29]
	v_mul_f64 v[34:35], v[66:67], s[2:3]
	v_fma_f64 v[6:7], v[74:75], s[44:45], v[4:5]
	v_add_f64 v[54:55], v[54:55], v[78:79]
	v_add_f64 v[50:51], v[10:11], v[50:51]
	v_fma_f64 v[10:11], v[76:77], s[46:47], v[8:9]
	v_add_f64 v[78:79], v[18:19], v[20:21]
	v_add_f64 v[80:81], v[12:13], v[22:23]
	v_fma_f64 v[12:13], v[74:75], s[44:45], -v[4:5]
	v_fma_f64 v[14:15], v[76:77], s[42:43], v[8:9]
	v_fma_f64 v[18:19], v[74:75], s[2:3], v[30:31]
	;; [unrolled: 1-line block ×3, first 2 shown]
	v_add_f64 v[4:5], v[6:7], v[44:45]
	v_mul_f64 v[22:23], v[62:63], s[36:37]
	v_mul_f64 v[44:45], v[66:67], s[38:39]
	v_add_f64 v[6:7], v[10:11], v[52:53]
	v_add_f64 v[8:9], v[12:13], v[16:17]
	;; [unrolled: 1-line block ×5, first 2 shown]
	v_fma_f64 v[16:17], v[74:75], s[2:3], -v[30:31]
	v_fma_f64 v[18:19], v[76:77], s[28:29], v[34:35]
	v_fma_f64 v[20:21], v[74:75], s[38:39], v[22:23]
	;; [unrolled: 1-line block ×3, first 2 shown]
	v_mul_f64 v[32:33], v[62:63], s[24:25]
	v_mul_f64 v[34:35], v[66:67], s[22:23]
	v_fma_f64 v[42:43], v[74:75], s[38:39], -v[22:23]
	v_fma_f64 v[44:45], v[76:77], s[36:37], v[44:45]
	v_add_f64 v[16:17], v[16:17], v[24:25]
	v_add_f64 v[18:19], v[18:19], v[26:27]
	;; [unrolled: 1-line block ×4, first 2 shown]
	v_fma_f64 v[28:29], v[74:75], s[22:23], v[32:33]
	v_fma_f64 v[30:31], v[76:77], s[20:21], v[34:35]
	v_add_f64 v[24:25], v[42:43], v[46:47]
	v_fma_f64 v[32:33], v[74:75], s[22:23], -v[32:33]
	v_fma_f64 v[34:35], v[76:77], s[24:25], v[34:35]
	v_mul_f64 v[40:41], v[62:63], s[26:27]
	v_mul_f64 v[42:43], v[66:67], s[30:31]
	v_add_f64 v[26:27], v[44:45], v[48:49]
	v_mul_f64 v[44:45], v[62:63], s[18:19]
	v_mul_f64 v[46:47], v[66:67], s[16:17]
	v_add_f64 v[56:57], v[56:57], v[82:83]
	v_add_f64 v[32:33], v[32:33], v[36:37]
	;; [unrolled: 1-line block ×3, first 2 shown]
	v_fma_f64 v[36:37], v[74:75], s[30:31], v[40:41]
	v_fma_f64 v[38:39], v[76:77], s[34:35], v[42:43]
	v_add_f64 v[28:29], v[28:29], v[54:55]
	v_fma_f64 v[48:49], v[74:75], s[16:17], v[44:45]
	v_fma_f64 v[52:53], v[76:77], s[8:9], v[46:47]
	v_add_f64 v[30:31], v[30:31], v[56:57]
	v_fma_f64 v[54:55], v[74:75], s[16:17], -v[44:45]
	v_fma_f64 v[56:57], v[76:77], s[18:19], v[46:47]
	v_fma_f64 v[40:41], v[74:75], s[30:31], -v[40:41]
	v_fma_f64 v[42:43], v[76:77], s[26:27], v[42:43]
	v_add_f64 v[36:37], v[36:37], v[58:59]
	v_add_f64 v[38:39], v[38:39], v[60:61]
	;; [unrolled: 1-line block ×8, first 2 shown]
	ds_write_b128 v255, v[0:3]
	ds_write_b128 v255, v[4:7] offset:1632
	ds_write_b128 v255, v[12:15] offset:3264
	;; [unrolled: 1-line block ×12, first 2 shown]
	s_waitcnt lgkmcnt(0)
	s_barrier
	s_and_b64 exec, exec, s[0:1]
	s_cbranch_execz .LBB0_23
; %bb.22:
	buffer_load_dword v20, off, s[64:67], 0 ; 4-byte Folded Reload
	ds_read_b128 v[4:7], v255
	s_mul_i32 s3, s5, 0x4e0
	s_mul_i32 s2, s4, 0x4e0
	s_waitcnt vmcnt(0)
	v_lshlrev_b32_e32 v21, 4, v20
	global_load_dwordx4 v[0:3], v21, s[12:13]
	buffer_load_dword v8, off, s[64:67], 0 offset:4 ; 4-byte Folded Reload
	buffer_load_dword v9, off, s[64:67], 0 offset:8 ; 4-byte Folded Reload
	v_mad_u64_u32 v[14:15], s[0:1], s4, v20, 0
	s_waitcnt vmcnt(2) lgkmcnt(0)
	v_mul_f64 v[16:17], v[6:7], v[2:3]
	v_mul_f64 v[2:3], v[4:5], v[2:3]
	s_waitcnt vmcnt(1)
	v_mov_b32_e32 v18, v8
	v_mad_u64_u32 v[12:13], s[0:1], s6, v18, 0
	s_waitcnt vmcnt(0)
	ds_read_b128 v[8:11], v255 offset:1248
	v_mad_u64_u32 v[18:19], s[0:1], s7, v18, v[13:14]
	v_fma_f64 v[4:5], v[4:5], v[0:1], v[16:17]
	v_fma_f64 v[2:3], v[0:1], v[6:7], -v[2:3]
	v_mad_u64_u32 v[19:20], s[0:1], s5, v20, v[15:16]
	s_mov_b32 s0, 0x18b64019
	s_mov_b32 s1, 0x3f48b640
	v_mov_b32_e32 v13, v18
	v_lshlrev_b64 v[6:7], 4, v[12:13]
	v_mul_f64 v[0:1], v[4:5], s[0:1]
	v_mul_f64 v[2:3], v[2:3], s[0:1]
	v_mov_b32_e32 v15, v19
	v_mov_b32_e32 v16, s15
	v_lshlrev_b64 v[12:13], 4, v[14:15]
	v_add_co_u32_e32 v4, vcc, s14, v6
	v_addc_co_u32_e32 v5, vcc, v16, v7, vcc
	v_add_co_u32_e32 v4, vcc, v4, v12
	v_addc_co_u32_e32 v5, vcc, v5, v13, vcc
	global_store_dwordx4 v[4:5], v[0:3], off
	global_load_dwordx4 v[0:3], v21, s[12:13] offset:1248
	s_mul_hi_u32 s5, s4, 0x4e0
	s_add_i32 s3, s5, s3
	v_add_co_u32_e32 v12, vcc, s2, v4
	s_movk_i32 s4, 0x1000
	s_waitcnt vmcnt(0) lgkmcnt(0)
	v_mul_f64 v[6:7], v[10:11], v[2:3]
	v_mul_f64 v[2:3], v[8:9], v[2:3]
	v_fma_f64 v[6:7], v[8:9], v[0:1], v[6:7]
	v_fma_f64 v[2:3], v[0:1], v[10:11], -v[2:3]
	v_mul_f64 v[0:1], v[6:7], s[0:1]
	v_mul_f64 v[2:3], v[2:3], s[0:1]
	v_mov_b32_e32 v6, s3
	v_addc_co_u32_e32 v13, vcc, v5, v6, vcc
	global_store_dwordx4 v[12:13], v[0:3], off
	global_load_dwordx4 v[0:3], v21, s[12:13] offset:2496
	ds_read_b128 v[4:7], v255 offset:2496
	ds_read_b128 v[8:11], v255 offset:3744
	s_waitcnt vmcnt(0) lgkmcnt(1)
	v_mul_f64 v[14:15], v[6:7], v[2:3]
	v_mul_f64 v[2:3], v[4:5], v[2:3]
	v_fma_f64 v[4:5], v[4:5], v[0:1], v[14:15]
	v_fma_f64 v[2:3], v[0:1], v[6:7], -v[2:3]
	v_mul_f64 v[0:1], v[4:5], s[0:1]
	v_mul_f64 v[2:3], v[2:3], s[0:1]
	v_mov_b32_e32 v5, s3
	v_add_co_u32_e32 v4, vcc, s2, v12
	v_addc_co_u32_e32 v5, vcc, v13, v5, vcc
	v_mov_b32_e32 v12, s13
	v_add_co_u32_e32 v18, vcc, s12, v21
	global_store_dwordx4 v[4:5], v[0:3], off
	global_load_dwordx4 v[0:3], v21, s[12:13] offset:3744
	v_addc_co_u32_e32 v19, vcc, 0, v12, vcc
	v_add_co_u32_e32 v12, vcc, s4, v18
	v_addc_co_u32_e32 v13, vcc, 0, v19, vcc
	v_add_co_u32_e32 v14, vcc, s2, v4
	s_movk_i32 s4, 0x2000
	s_waitcnt vmcnt(0) lgkmcnt(0)
	v_mul_f64 v[6:7], v[10:11], v[2:3]
	v_mul_f64 v[2:3], v[8:9], v[2:3]
	v_fma_f64 v[6:7], v[8:9], v[0:1], v[6:7]
	v_fma_f64 v[2:3], v[0:1], v[10:11], -v[2:3]
	v_mov_b32_e32 v8, s3
	v_addc_co_u32_e32 v15, vcc, v5, v8, vcc
	v_mul_f64 v[0:1], v[6:7], s[0:1]
	v_mul_f64 v[2:3], v[2:3], s[0:1]
	global_store_dwordx4 v[14:15], v[0:3], off
	global_load_dwordx4 v[0:3], v[12:13], off offset:896
	ds_read_b128 v[4:7], v255 offset:4992
	ds_read_b128 v[8:11], v255 offset:6240
	s_waitcnt vmcnt(0) lgkmcnt(1)
	v_mul_f64 v[16:17], v[6:7], v[2:3]
	v_mul_f64 v[2:3], v[4:5], v[2:3]
	v_fma_f64 v[4:5], v[4:5], v[0:1], v[16:17]
	v_fma_f64 v[2:3], v[0:1], v[6:7], -v[2:3]
	v_mul_f64 v[0:1], v[4:5], s[0:1]
	v_mul_f64 v[2:3], v[2:3], s[0:1]
	v_mov_b32_e32 v5, s3
	v_add_co_u32_e32 v4, vcc, s2, v14
	v_addc_co_u32_e32 v5, vcc, v15, v5, vcc
	v_add_co_u32_e32 v14, vcc, s2, v4
	global_store_dwordx4 v[4:5], v[0:3], off
	global_load_dwordx4 v[0:3], v[12:13], off offset:2144
	s_waitcnt vmcnt(0) lgkmcnt(0)
	v_mul_f64 v[6:7], v[10:11], v[2:3]
	v_mul_f64 v[2:3], v[8:9], v[2:3]
	v_fma_f64 v[6:7], v[8:9], v[0:1], v[6:7]
	v_fma_f64 v[2:3], v[0:1], v[10:11], -v[2:3]
	v_mul_f64 v[0:1], v[6:7], s[0:1]
	v_mul_f64 v[2:3], v[2:3], s[0:1]
	v_mov_b32_e32 v6, s3
	v_addc_co_u32_e32 v15, vcc, v5, v6, vcc
	global_store_dwordx4 v[14:15], v[0:3], off
	global_load_dwordx4 v[0:3], v[12:13], off offset:3392
	ds_read_b128 v[4:7], v255 offset:7488
	ds_read_b128 v[8:11], v255 offset:8736
	s_waitcnt vmcnt(0) lgkmcnt(1)
	v_mul_f64 v[12:13], v[6:7], v[2:3]
	v_mul_f64 v[2:3], v[4:5], v[2:3]
	v_fma_f64 v[4:5], v[4:5], v[0:1], v[12:13]
	v_fma_f64 v[2:3], v[0:1], v[6:7], -v[2:3]
	v_add_co_u32_e32 v12, vcc, s4, v18
	v_addc_co_u32_e32 v13, vcc, 0, v19, vcc
	v_mov_b32_e32 v6, s3
	s_movk_i32 s4, 0x3000
	v_mul_f64 v[0:1], v[4:5], s[0:1]
	v_mul_f64 v[2:3], v[2:3], s[0:1]
	v_add_co_u32_e32 v4, vcc, s2, v14
	v_addc_co_u32_e32 v5, vcc, v15, v6, vcc
	v_add_co_u32_e32 v14, vcc, s2, v4
	global_store_dwordx4 v[4:5], v[0:3], off
	global_load_dwordx4 v[0:3], v[12:13], off offset:544
	s_waitcnt vmcnt(0) lgkmcnt(0)
	v_mul_f64 v[6:7], v[10:11], v[2:3]
	v_mul_f64 v[2:3], v[8:9], v[2:3]
	v_fma_f64 v[6:7], v[8:9], v[0:1], v[6:7]
	v_fma_f64 v[2:3], v[0:1], v[10:11], -v[2:3]
	v_mul_f64 v[0:1], v[6:7], s[0:1]
	v_mul_f64 v[2:3], v[2:3], s[0:1]
	v_mov_b32_e32 v6, s3
	v_addc_co_u32_e32 v15, vcc, v5, v6, vcc
	global_store_dwordx4 v[14:15], v[0:3], off
	global_load_dwordx4 v[0:3], v[12:13], off offset:1792
	ds_read_b128 v[4:7], v255 offset:9984
	ds_read_b128 v[8:11], v255 offset:11232
	s_waitcnt vmcnt(0) lgkmcnt(1)
	v_mul_f64 v[16:17], v[6:7], v[2:3]
	v_mul_f64 v[2:3], v[4:5], v[2:3]
	v_fma_f64 v[4:5], v[4:5], v[0:1], v[16:17]
	v_fma_f64 v[2:3], v[0:1], v[6:7], -v[2:3]
	v_mul_f64 v[0:1], v[4:5], s[0:1]
	v_mul_f64 v[2:3], v[2:3], s[0:1]
	v_mov_b32_e32 v5, s3
	v_add_co_u32_e32 v4, vcc, s2, v14
	v_addc_co_u32_e32 v5, vcc, v15, v5, vcc
	global_store_dwordx4 v[4:5], v[0:3], off
	global_load_dwordx4 v[0:3], v[12:13], off offset:3040
	v_add_co_u32_e32 v12, vcc, s4, v18
	v_addc_co_u32_e32 v13, vcc, 0, v19, vcc
	v_add_co_u32_e32 v14, vcc, s2, v4
	s_movk_i32 s4, 0x4000
	s_waitcnt vmcnt(0) lgkmcnt(0)
	v_mul_f64 v[6:7], v[10:11], v[2:3]
	v_mul_f64 v[2:3], v[8:9], v[2:3]
	v_fma_f64 v[6:7], v[8:9], v[0:1], v[6:7]
	v_fma_f64 v[2:3], v[0:1], v[10:11], -v[2:3]
	v_mov_b32_e32 v8, s3
	v_addc_co_u32_e32 v15, vcc, v5, v8, vcc
	v_mul_f64 v[0:1], v[6:7], s[0:1]
	v_mul_f64 v[2:3], v[2:3], s[0:1]
	global_store_dwordx4 v[14:15], v[0:3], off
	global_load_dwordx4 v[0:3], v[12:13], off offset:192
	ds_read_b128 v[4:7], v255 offset:12480
	ds_read_b128 v[8:11], v255 offset:13728
	s_waitcnt vmcnt(0) lgkmcnt(1)
	v_mul_f64 v[16:17], v[6:7], v[2:3]
	v_mul_f64 v[2:3], v[4:5], v[2:3]
	v_fma_f64 v[4:5], v[4:5], v[0:1], v[16:17]
	v_fma_f64 v[2:3], v[0:1], v[6:7], -v[2:3]
	v_mul_f64 v[0:1], v[4:5], s[0:1]
	v_mul_f64 v[2:3], v[2:3], s[0:1]
	v_mov_b32_e32 v5, s3
	v_add_co_u32_e32 v4, vcc, s2, v14
	v_addc_co_u32_e32 v5, vcc, v15, v5, vcc
	v_add_co_u32_e32 v14, vcc, s2, v4
	global_store_dwordx4 v[4:5], v[0:3], off
	global_load_dwordx4 v[0:3], v[12:13], off offset:1440
	s_waitcnt vmcnt(0) lgkmcnt(0)
	v_mul_f64 v[6:7], v[10:11], v[2:3]
	v_mul_f64 v[2:3], v[8:9], v[2:3]
	v_fma_f64 v[6:7], v[8:9], v[0:1], v[6:7]
	v_fma_f64 v[2:3], v[0:1], v[10:11], -v[2:3]
	v_mul_f64 v[0:1], v[6:7], s[0:1]
	v_mul_f64 v[2:3], v[2:3], s[0:1]
	v_mov_b32_e32 v6, s3
	v_addc_co_u32_e32 v15, vcc, v5, v6, vcc
	global_store_dwordx4 v[14:15], v[0:3], off
	global_load_dwordx4 v[0:3], v[12:13], off offset:2688
	ds_read_b128 v[4:7], v255 offset:14976
	ds_read_b128 v[8:11], v255 offset:16224
	s_waitcnt vmcnt(0) lgkmcnt(1)
	v_mul_f64 v[16:17], v[6:7], v[2:3]
	v_mul_f64 v[2:3], v[4:5], v[2:3]
	v_fma_f64 v[4:5], v[4:5], v[0:1], v[16:17]
	v_fma_f64 v[2:3], v[0:1], v[6:7], -v[2:3]
	v_mul_f64 v[0:1], v[4:5], s[0:1]
	v_mul_f64 v[2:3], v[2:3], s[0:1]
	v_mov_b32_e32 v5, s3
	v_add_co_u32_e32 v4, vcc, s2, v14
	v_addc_co_u32_e32 v5, vcc, v15, v5, vcc
	global_store_dwordx4 v[4:5], v[0:3], off
	global_load_dwordx4 v[0:3], v[12:13], off offset:3936
	v_add_co_u32_e32 v12, vcc, s4, v18
	v_addc_co_u32_e32 v13, vcc, 0, v19, vcc
	v_add_co_u32_e32 v14, vcc, s2, v4
	s_waitcnt vmcnt(0) lgkmcnt(0)
	v_mul_f64 v[6:7], v[10:11], v[2:3]
	v_mul_f64 v[2:3], v[8:9], v[2:3]
	v_fma_f64 v[6:7], v[8:9], v[0:1], v[6:7]
	v_fma_f64 v[2:3], v[0:1], v[10:11], -v[2:3]
	v_mov_b32_e32 v8, s3
	v_addc_co_u32_e32 v15, vcc, v5, v8, vcc
	v_mul_f64 v[0:1], v[6:7], s[0:1]
	v_mul_f64 v[2:3], v[2:3], s[0:1]
	global_store_dwordx4 v[14:15], v[0:3], off
	global_load_dwordx4 v[0:3], v[12:13], off offset:1088
	ds_read_b128 v[4:7], v255 offset:17472
	ds_read_b128 v[8:11], v255 offset:18720
	s_waitcnt vmcnt(0) lgkmcnt(1)
	v_mul_f64 v[16:17], v[6:7], v[2:3]
	v_mul_f64 v[2:3], v[4:5], v[2:3]
	v_fma_f64 v[4:5], v[4:5], v[0:1], v[16:17]
	v_fma_f64 v[2:3], v[0:1], v[6:7], -v[2:3]
	v_mul_f64 v[0:1], v[4:5], s[0:1]
	v_mul_f64 v[2:3], v[2:3], s[0:1]
	v_mov_b32_e32 v5, s3
	v_add_co_u32_e32 v4, vcc, s2, v14
	v_addc_co_u32_e32 v5, vcc, v15, v5, vcc
	global_store_dwordx4 v[4:5], v[0:3], off
	global_load_dwordx4 v[0:3], v[12:13], off offset:2336
	s_waitcnt vmcnt(0) lgkmcnt(0)
	v_mul_f64 v[6:7], v[10:11], v[2:3]
	v_mul_f64 v[2:3], v[8:9], v[2:3]
	v_fma_f64 v[6:7], v[8:9], v[0:1], v[6:7]
	v_fma_f64 v[2:3], v[0:1], v[10:11], -v[2:3]
	v_add_co_u32_e32 v8, vcc, s2, v4
	v_mul_f64 v[0:1], v[6:7], s[0:1]
	v_mul_f64 v[2:3], v[2:3], s[0:1]
	v_mov_b32_e32 v6, s3
	v_addc_co_u32_e32 v9, vcc, v5, v6, vcc
	ds_read_b128 v[4:7], v255 offset:19968
	global_store_dwordx4 v[8:9], v[0:3], off
	global_load_dwordx4 v[0:3], v[12:13], off offset:3584
	s_waitcnt vmcnt(0) lgkmcnt(0)
	v_mul_f64 v[10:11], v[6:7], v[2:3]
	v_mul_f64 v[2:3], v[4:5], v[2:3]
	v_fma_f64 v[4:5], v[4:5], v[0:1], v[10:11]
	v_fma_f64 v[2:3], v[0:1], v[6:7], -v[2:3]
	v_mul_f64 v[0:1], v[4:5], s[0:1]
	v_mul_f64 v[2:3], v[2:3], s[0:1]
	v_mov_b32_e32 v5, s3
	v_add_co_u32_e32 v4, vcc, s2, v8
	v_addc_co_u32_e32 v5, vcc, v9, v5, vcc
	global_store_dwordx4 v[4:5], v[0:3], off
.LBB0_23:
	s_endpgm
	.section	.rodata,"a",@progbits
	.p2align	6, 0x0
	.amdhsa_kernel bluestein_single_back_len1326_dim1_dp_op_CI_CI
		.amdhsa_group_segment_fixed_size 42432
		.amdhsa_private_segment_fixed_size 908
		.amdhsa_kernarg_size 104
		.amdhsa_user_sgpr_count 6
		.amdhsa_user_sgpr_private_segment_buffer 1
		.amdhsa_user_sgpr_dispatch_ptr 0
		.amdhsa_user_sgpr_queue_ptr 0
		.amdhsa_user_sgpr_kernarg_segment_ptr 1
		.amdhsa_user_sgpr_dispatch_id 0
		.amdhsa_user_sgpr_flat_scratch_init 0
		.amdhsa_user_sgpr_private_segment_size 0
		.amdhsa_uses_dynamic_stack 0
		.amdhsa_system_sgpr_private_segment_wavefront_offset 1
		.amdhsa_system_sgpr_workgroup_id_x 1
		.amdhsa_system_sgpr_workgroup_id_y 0
		.amdhsa_system_sgpr_workgroup_id_z 0
		.amdhsa_system_sgpr_workgroup_info 0
		.amdhsa_system_vgpr_workitem_id 0
		.amdhsa_next_free_vgpr 256
		.amdhsa_next_free_sgpr 68
		.amdhsa_reserve_vcc 1
		.amdhsa_reserve_flat_scratch 0
		.amdhsa_float_round_mode_32 0
		.amdhsa_float_round_mode_16_64 0
		.amdhsa_float_denorm_mode_32 3
		.amdhsa_float_denorm_mode_16_64 3
		.amdhsa_dx10_clamp 1
		.amdhsa_ieee_mode 1
		.amdhsa_fp16_overflow 0
		.amdhsa_exception_fp_ieee_invalid_op 0
		.amdhsa_exception_fp_denorm_src 0
		.amdhsa_exception_fp_ieee_div_zero 0
		.amdhsa_exception_fp_ieee_overflow 0
		.amdhsa_exception_fp_ieee_underflow 0
		.amdhsa_exception_fp_ieee_inexact 0
		.amdhsa_exception_int_div_zero 0
	.end_amdhsa_kernel
	.text
.Lfunc_end0:
	.size	bluestein_single_back_len1326_dim1_dp_op_CI_CI, .Lfunc_end0-bluestein_single_back_len1326_dim1_dp_op_CI_CI
                                        ; -- End function
	.section	.AMDGPU.csdata,"",@progbits
; Kernel info:
; codeLenInByte = 37644
; NumSgprs: 72
; NumVgprs: 256
; ScratchSize: 908
; MemoryBound: 0
; FloatMode: 240
; IeeeMode: 1
; LDSByteSize: 42432 bytes/workgroup (compile time only)
; SGPRBlocks: 8
; VGPRBlocks: 63
; NumSGPRsForWavesPerEU: 72
; NumVGPRsForWavesPerEU: 256
; Occupancy: 1
; WaveLimiterHint : 1
; COMPUTE_PGM_RSRC2:SCRATCH_EN: 1
; COMPUTE_PGM_RSRC2:USER_SGPR: 6
; COMPUTE_PGM_RSRC2:TRAP_HANDLER: 0
; COMPUTE_PGM_RSRC2:TGID_X_EN: 1
; COMPUTE_PGM_RSRC2:TGID_Y_EN: 0
; COMPUTE_PGM_RSRC2:TGID_Z_EN: 0
; COMPUTE_PGM_RSRC2:TIDIG_COMP_CNT: 0
	.type	__hip_cuid_5542a3e9d01246dc,@object ; @__hip_cuid_5542a3e9d01246dc
	.section	.bss,"aw",@nobits
	.globl	__hip_cuid_5542a3e9d01246dc
__hip_cuid_5542a3e9d01246dc:
	.byte	0                               ; 0x0
	.size	__hip_cuid_5542a3e9d01246dc, 1

	.ident	"AMD clang version 19.0.0git (https://github.com/RadeonOpenCompute/llvm-project roc-6.4.0 25133 c7fe45cf4b819c5991fe208aaa96edf142730f1d)"
	.section	".note.GNU-stack","",@progbits
	.addrsig
	.addrsig_sym __hip_cuid_5542a3e9d01246dc
	.amdgpu_metadata
---
amdhsa.kernels:
  - .args:
      - .actual_access:  read_only
        .address_space:  global
        .offset:         0
        .size:           8
        .value_kind:     global_buffer
      - .actual_access:  read_only
        .address_space:  global
        .offset:         8
        .size:           8
        .value_kind:     global_buffer
      - .actual_access:  read_only
        .address_space:  global
        .offset:         16
        .size:           8
        .value_kind:     global_buffer
      - .actual_access:  read_only
        .address_space:  global
        .offset:         24
        .size:           8
        .value_kind:     global_buffer
      - .actual_access:  read_only
        .address_space:  global
        .offset:         32
        .size:           8
        .value_kind:     global_buffer
      - .offset:         40
        .size:           8
        .value_kind:     by_value
      - .address_space:  global
        .offset:         48
        .size:           8
        .value_kind:     global_buffer
      - .address_space:  global
        .offset:         56
        .size:           8
        .value_kind:     global_buffer
      - .address_space:  global
        .offset:         64
        .size:           8
        .value_kind:     global_buffer
      - .address_space:  global
        .offset:         72
        .size:           8
        .value_kind:     global_buffer
      - .offset:         80
        .size:           4
        .value_kind:     by_value
      - .address_space:  global
        .offset:         88
        .size:           8
        .value_kind:     global_buffer
      - .address_space:  global
        .offset:         96
        .size:           8
        .value_kind:     global_buffer
    .group_segment_fixed_size: 42432
    .kernarg_segment_align: 8
    .kernarg_segment_size: 104
    .language:       OpenCL C
    .language_version:
      - 2
      - 0
    .max_flat_workgroup_size: 204
    .name:           bluestein_single_back_len1326_dim1_dp_op_CI_CI
    .private_segment_fixed_size: 908
    .sgpr_count:     72
    .sgpr_spill_count: 0
    .symbol:         bluestein_single_back_len1326_dim1_dp_op_CI_CI.kd
    .uniform_work_group_size: 1
    .uses_dynamic_stack: false
    .vgpr_count:     256
    .vgpr_spill_count: 327
    .wavefront_size: 64
amdhsa.target:   amdgcn-amd-amdhsa--gfx906
amdhsa.version:
  - 1
  - 2
...

	.end_amdgpu_metadata
